;; amdgpu-corpus repo=ROCm/rocSPARSE kind=compiled arch=gfx90a opt=O3
	.text
	.amdgcn_target "amdgcn-amd-amdhsa--gfx90a"
	.amdhsa_code_object_version 6
	.section	.text._ZN9rocsparse31csrmmnn_row_split_shared_kernelILj256ELj8EfiifffEEvNS_24const_host_device_scalarIT1_EES3_bbbT3_S4_llPKT2_PKS4_PKT4_PKT5_llPT6_ll16rocsparse_order_21rocsparse_index_base_,"axG",@progbits,_ZN9rocsparse31csrmmnn_row_split_shared_kernelILj256ELj8EfiifffEEvNS_24const_host_device_scalarIT1_EES3_bbbT3_S4_llPKT2_PKS4_PKT4_PKT5_llPT6_ll16rocsparse_order_21rocsparse_index_base_,comdat
	.protected	_ZN9rocsparse31csrmmnn_row_split_shared_kernelILj256ELj8EfiifffEEvNS_24const_host_device_scalarIT1_EES3_bbbT3_S4_llPKT2_PKS4_PKT4_PKT5_llPT6_ll16rocsparse_order_21rocsparse_index_base_ ; -- Begin function _ZN9rocsparse31csrmmnn_row_split_shared_kernelILj256ELj8EfiifffEEvNS_24const_host_device_scalarIT1_EES3_bbbT3_S4_llPKT2_PKS4_PKT4_PKT5_llPT6_ll16rocsparse_order_21rocsparse_index_base_
	.globl	_ZN9rocsparse31csrmmnn_row_split_shared_kernelILj256ELj8EfiifffEEvNS_24const_host_device_scalarIT1_EES3_bbbT3_S4_llPKT2_PKS4_PKT4_PKT5_llPT6_ll16rocsparse_order_21rocsparse_index_base_
	.p2align	8
	.type	_ZN9rocsparse31csrmmnn_row_split_shared_kernelILj256ELj8EfiifffEEvNS_24const_host_device_scalarIT1_EES3_bbbT3_S4_llPKT2_PKS4_PKT4_PKT5_llPT6_ll16rocsparse_order_21rocsparse_index_base_,@function
_ZN9rocsparse31csrmmnn_row_split_shared_kernelILj256ELj8EfiifffEEvNS_24const_host_device_scalarIT1_EES3_bbbT3_S4_llPKT2_PKS4_PKT4_PKT5_llPT6_ll16rocsparse_order_21rocsparse_index_base_: ; @_ZN9rocsparse31csrmmnn_row_split_shared_kernelILj256ELj8EfiifffEEvNS_24const_host_device_scalarIT1_EES3_bbbT3_S4_llPKT2_PKS4_PKT4_PKT5_llPT6_ll16rocsparse_order_21rocsparse_index_base_
; %bb.0:
	s_load_dwordx8 s[36:43], s[4:5], 0x0
	s_waitcnt lgkmcnt(0)
	s_bitcmp1_b32 s40, 0
	s_cselect_b64 s[2:3], -1, 0
	s_xor_b64 s[0:1], s[2:3], -1
	s_and_b64 vcc, exec, s[2:3]
	s_cbranch_vccnz .LBB0_2
; %bb.1:
	s_load_dword s36, s[36:37], 0x0
.LBB0_2:
	s_andn2_b64 vcc, exec, s[0:1]
	s_cbranch_vccnz .LBB0_4
; %bb.3:
	s_load_dword s38, s[38:39], 0x0
.LBB0_4:
	s_waitcnt lgkmcnt(0)
	v_cmp_eq_f32_e64 s[0:1], s36, 0
	v_cmp_eq_f32_e64 s[2:3], s38, 1.0
	s_and_b64 s[0:1], s[0:1], s[2:3]
	s_and_b64 vcc, exec, s[0:1]
	s_cbranch_vccnz .LBB0_21
; %bb.5:
	v_lshl_or_b32 v1, s6, 8, v0
	v_lshrrev_b32_e32 v6, 3, v1
	v_cmp_gt_i32_e32 vcc, s41, v6
	s_and_saveexec_b64 s[0:1], vcc
	s_cbranch_execz .LBB0_21
; %bb.6:
	s_load_dwordx16 s[12:27], s[4:5], 0x20
	s_ashr_i32 s9, s8, 31
	v_lshlrev_b32_e32 v1, 2, v6
	s_load_dwordx2 s[10:11], s[4:5], 0x78
	v_and_b32_e32 v7, 7, v0
	s_waitcnt lgkmcnt(0)
	s_mul_i32 s1, s8, s13
	s_mul_hi_u32 s2, s8, s12
	s_mul_i32 s3, s9, s12
	s_add_i32 s1, s2, s1
	s_mul_i32 s0, s8, s12
	s_add_i32 s1, s1, s3
	s_lshl_b64 s[0:1], s[0:1], 2
	s_add_u32 s0, s16, s0
	s_addc_u32 s1, s17, s1
	global_load_dwordx2 v[4:5], v1, s[0:1]
	v_lshl_or_b32 v2, s7, 3, v7
	v_ashrrev_i32_e32 v3, 31, v2
	v_mov_b32_e32 v8, 0
	s_waitcnt vmcnt(0)
	v_cmp_lt_i32_e32 vcc, v4, v5
	s_and_saveexec_b64 s[2:3], vcc
	s_cbranch_execz .LBB0_14
; %bb.7:
	v_mad_u64_u32 v[12:13], s[0:1], v2, s24, 0
	s_mul_i32 s0, s8, s15
	s_mul_hi_u32 s1, s8, s14
	s_add_i32 s0, s1, s0
	s_mul_i32 s1, s9, s14
	s_add_i32 s15, s0, s1
	s_mul_i32 s0, s8, s27
	s_mul_hi_u32 s1, s8, s26
	s_add_i32 s0, s1, s0
	s_mul_i32 s1, s9, s26
	s_add_i32 s1, s0, s1
	s_mul_i32 s0, s8, s26
	v_mul_lo_u32 v8, v3, s24
	v_mul_lo_u32 v9, v2, s25
	v_lshlrev_b32_e32 v0, 2, v0
	s_lshl_b64 s[0:1], s[0:1], 2
	v_add3_u32 v13, v13, v9, v8
	v_and_b32_e32 v0, 0x3e0, v0
	s_add_u32 s0, s0, s22
	v_lshlrev_b32_e32 v8, 2, v7
	v_or_b32_e32 v10, 0x400, v0
	v_lshlrev_b64 v[12:13], 2, v[12:13]
	s_addc_u32 s1, s1, s23
	v_or_b32_e32 v9, v0, v8
	v_or_b32_e32 v11, v10, v8
	v_mov_b32_e32 v8, s1
	v_add_co_u32_e64 v12, s[0:1], s0, v12
	v_subrev_u32_e32 v5, s11, v5
	v_subrev_u32_e32 v4, s11, v4
	s_mul_i32 s14, s8, s14
	v_cmp_gt_i32_e32 vcc, s42, v2
	v_addc_co_u32_e64 v13, s[0:1], v8, v13, s[0:1]
	s_mov_b64 s[6:7], 0
	v_mov_b32_e32 v8, 0
	s_branch .LBB0_9
.LBB0_8:                                ;   in Loop: Header=BB0_9 Depth=1
	s_or_b64 exec, exec, s[12:13]
	v_add_u32_e32 v4, 8, v4
	v_cmp_ge_i32_e64 s[0:1], v4, v5
	s_or_b64 s[6:7], s[0:1], s[6:7]
	s_andn2_b64 exec, exec, s[6:7]
	s_cbranch_execz .LBB0_13
.LBB0_9:                                ; =>This Inner Loop Header: Depth=1
	v_add_u32_e32 v14, v7, v4
	v_cmp_lt_i32_e64 s[0:1], v14, v5
	v_mov_b32_e32 v16, 0
	v_mov_b32_e32 v15, 0
	s_barrier
	s_and_saveexec_b64 s[12:13], s[0:1]
	s_cbranch_execz .LBB0_11
; %bb.10:                               ;   in Loop: Header=BB0_9 Depth=1
	v_ashrrev_i32_e32 v15, 31, v14
	v_mov_b32_e32 v16, s15
	v_add_co_u32_e64 v14, s[0:1], s14, v14
	v_addc_co_u32_e64 v15, s[0:1], v16, v15, s[0:1]
	v_lshlrev_b64 v[14:15], 2, v[14:15]
	v_mov_b32_e32 v17, s19
	v_add_co_u32_e64 v16, s[0:1], s18, v14
	v_addc_co_u32_e64 v17, s[0:1], v17, v15, s[0:1]
	global_load_dword v16, v[16:17], off
	v_mov_b32_e32 v17, s21
	v_add_co_u32_e64 v14, s[0:1], s20, v14
	v_addc_co_u32_e64 v15, s[0:1], v17, v15, s[0:1]
	global_load_dword v15, v[14:15], off
	s_waitcnt vmcnt(1)
	v_subrev_u32_e32 v16, s11, v16
.LBB0_11:                               ;   in Loop: Header=BB0_9 Depth=1
	s_or_b64 exec, exec, s[12:13]
	ds_write_b32 v9, v16
	s_waitcnt vmcnt(0)
	ds_write_b32 v11, v15
	s_waitcnt lgkmcnt(0)
	s_barrier
	s_and_saveexec_b64 s[12:13], vcc
	s_cbranch_execz .LBB0_8
; %bb.12:                               ;   in Loop: Header=BB0_9 Depth=1
	ds_read_b128 v[14:17], v0
	ds_read_b128 v[18:21], v0 offset:16
	s_waitcnt lgkmcnt(1)
	v_ashrrev_i32_e32 v23, 31, v14
	v_mov_b32_e32 v22, v14
	v_lshlrev_b64 v[22:23], 2, v[22:23]
	v_add_co_u32_e64 v22, s[0:1], v12, v22
	v_ashrrev_i32_e32 v25, 31, v15
	v_mov_b32_e32 v24, v15
	v_addc_co_u32_e64 v23, s[0:1], v13, v23, s[0:1]
	v_lshlrev_b64 v[14:15], 2, v[24:25]
	v_add_co_u32_e64 v14, s[0:1], v12, v14
	v_ashrrev_i32_e32 v25, 31, v16
	v_mov_b32_e32 v24, v16
	v_addc_co_u32_e64 v15, s[0:1], v13, v15, s[0:1]
	;; [unrolled: 5-line block ×3, first 2 shown]
	v_lshlrev_b64 v[16:17], 2, v[26:27]
	v_add_co_u32_e64 v16, s[0:1], v12, v16
	s_waitcnt lgkmcnt(0)
	v_ashrrev_i32_e32 v27, 31, v18
	v_mov_b32_e32 v26, v18
	v_addc_co_u32_e64 v17, s[0:1], v13, v17, s[0:1]
	v_lshlrev_b64 v[26:27], 2, v[26:27]
	v_add_co_u32_e64 v26, s[0:1], v12, v26
	v_ashrrev_i32_e32 v29, 31, v19
	v_mov_b32_e32 v28, v19
	v_addc_co_u32_e64 v27, s[0:1], v13, v27, s[0:1]
	v_lshlrev_b64 v[18:19], 2, v[28:29]
	v_add_co_u32_e64 v18, s[0:1], v12, v18
	;; [unrolled: 5-line block ×4, first 2 shown]
	v_addc_co_u32_e64 v21, s[0:1], v13, v21, s[0:1]
	global_load_dword v30, v[22:23], off
	global_load_dword v31, v[14:15], off
	;; [unrolled: 1-line block ×8, first 2 shown]
	ds_read_b128 v[14:17], v10
	ds_read_b128 v[18:21], v10 offset:16
	s_waitcnt vmcnt(7) lgkmcnt(1)
	v_fmac_f32_e32 v8, v14, v30
	s_waitcnt vmcnt(6)
	v_fmac_f32_e32 v8, v15, v31
	s_waitcnt vmcnt(5)
	;; [unrolled: 2-line block ×3, first 2 shown]
	v_fmac_f32_e32 v8, v17, v33
	s_waitcnt vmcnt(3) lgkmcnt(0)
	v_fmac_f32_e32 v8, v18, v34
	s_waitcnt vmcnt(2)
	v_fmac_f32_e32 v8, v19, v35
	s_waitcnt vmcnt(1)
	;; [unrolled: 2-line block ×3, first 2 shown]
	v_fmac_f32_e32 v8, v21, v37
	s_branch .LBB0_8
.LBB0_13:
	s_or_b64 exec, exec, s[6:7]
.LBB0_14:
	s_or_b64 exec, exec, s[2:3]
	v_cmp_gt_i32_e32 vcc, s42, v2
	s_and_b64 exec, exec, vcc
	s_cbranch_execz .LBB0_21
; %bb.15:
	s_load_dwordx4 s[0:3], s[4:5], 0x60
	s_load_dwordx2 s[14:15], s[4:5], 0x70
	v_cmp_neq_f32_e64 s[4:5], s38, 0
	s_cmp_lg_u32 s10, 1
	s_cselect_b64 s[6:7], -1, 0
	s_and_b64 vcc, exec, s[4:5]
	v_mul_f32_e32 v0, s36, v8
	s_waitcnt lgkmcnt(0)
	s_mul_i32 s10, s8, s15
	s_mul_hi_u32 s11, s8, s14
	s_mul_i32 s12, s9, s14
	s_mul_i32 s4, s8, s14
	s_cbranch_vccz .LBB0_22
; %bb.16:
	s_add_i32 s5, s11, s10
	s_add_i32 s5, s5, s12
	s_mov_b64 s[8:9], -1
	s_and_b64 vcc, exec, s[6:7]
	s_cbranch_vccz .LBB0_18
; %bb.17:
	v_mad_u64_u32 v[4:5], s[8:9], v6, s2, 0
	v_mov_b32_e32 v8, v5
	v_mad_u64_u32 v[8:9], s[8:9], v6, s3, v[8:9]
	v_mov_b32_e32 v5, v8
	v_lshlrev_b64 v[4:5], 2, v[4:5]
	v_mov_b32_e32 v7, s1
	v_add_co_u32_e32 v8, vcc, s0, v4
	v_addc_co_u32_e32 v7, vcc, v7, v5, vcc
	v_lshlrev_b64 v[4:5], 2, v[2:3]
	v_add_co_u32_e32 v4, vcc, v8, v4
	v_addc_co_u32_e32 v5, vcc, v7, v5, vcc
	s_lshl_b64 s[8:9], s[4:5], 2
	v_mov_b32_e32 v7, s9
	v_add_co_u32_e32 v4, vcc, s8, v4
	v_addc_co_u32_e32 v5, vcc, v5, v7, vcc
	global_load_dword v7, v[4:5], off
	s_mov_b64 s[8:9], 0
	s_waitcnt vmcnt(0)
	v_fma_f32 v7, s38, v7, v0
	global_store_dword v[4:5], v7, off
.LBB0_18:
	s_andn2_b64 vcc, exec, s[8:9]
	s_cbranch_vccnz .LBB0_20
; %bb.19:
	v_mul_lo_u32 v7, v3, s2
	v_mul_lo_u32 v8, v2, s3
	v_mad_u64_u32 v[4:5], s[8:9], v2, s2, 0
	v_add3_u32 v5, v5, v8, v7
	v_lshlrev_b64 v[4:5], 2, v[4:5]
	v_mov_b32_e32 v7, s1
	v_add_co_u32_e32 v4, vcc, s0, v4
	v_addc_co_u32_e32 v5, vcc, v7, v5, vcc
	v_add_co_u32_e32 v4, vcc, v4, v1
	v_addc_co_u32_e32 v5, vcc, 0, v5, vcc
	s_lshl_b64 s[8:9], s[4:5], 2
	v_mov_b32_e32 v7, s9
	v_add_co_u32_e32 v4, vcc, s8, v4
	v_addc_co_u32_e32 v5, vcc, v5, v7, vcc
	global_load_dword v7, v[4:5], off
	s_waitcnt vmcnt(0)
	v_fma_f32 v7, s38, v7, v0
	global_store_dword v[4:5], v7, off
.LBB0_20:
	s_cbranch_execz .LBB0_23
.LBB0_21:
	s_endpgm
.LBB0_22:
.LBB0_23:
	s_add_i32 s5, s11, s10
	s_add_i32 s5, s5, s12
	s_mov_b64 s[8:9], -1
	s_and_b64 vcc, exec, s[6:7]
	s_cbranch_vccz .LBB0_25
; %bb.24:
	v_mad_u64_u32 v[4:5], s[6:7], v6, s2, 0
	v_mov_b32_e32 v8, v5
	v_mad_u64_u32 v[6:7], s[6:7], v6, s3, v[8:9]
	v_mov_b32_e32 v5, v6
	v_lshlrev_b64 v[4:5], 2, v[4:5]
	v_mov_b32_e32 v6, s1
	v_add_co_u32_e32 v7, vcc, s0, v4
	v_addc_co_u32_e32 v6, vcc, v6, v5, vcc
	v_lshlrev_b64 v[4:5], 2, v[2:3]
	v_add_co_u32_e32 v4, vcc, v7, v4
	v_addc_co_u32_e32 v5, vcc, v6, v5, vcc
	s_lshl_b64 s[6:7], s[4:5], 2
	v_mov_b32_e32 v6, s7
	v_add_co_u32_e32 v4, vcc, s6, v4
	v_addc_co_u32_e32 v5, vcc, v5, v6, vcc
	global_store_dword v[4:5], v0, off
	s_mov_b64 s[8:9], 0
.LBB0_25:
	s_andn2_b64 vcc, exec, s[8:9]
	s_cbranch_vccnz .LBB0_21
; %bb.26:
	v_mul_lo_u32 v4, v3, s2
	v_mul_lo_u32 v5, v2, s3
	v_mad_u64_u32 v[2:3], s[2:3], v2, s2, 0
	v_add3_u32 v3, v3, v5, v4
	v_lshlrev_b64 v[2:3], 2, v[2:3]
	v_mov_b32_e32 v4, s1
	v_add_co_u32_e32 v2, vcc, s0, v2
	v_addc_co_u32_e32 v3, vcc, v4, v3, vcc
	v_add_co_u32_e32 v1, vcc, v2, v1
	v_addc_co_u32_e32 v3, vcc, 0, v3, vcc
	s_lshl_b64 s[0:1], s[4:5], 2
	v_mov_b32_e32 v4, s1
	v_add_co_u32_e32 v2, vcc, s0, v1
	v_addc_co_u32_e32 v3, vcc, v3, v4, vcc
	global_store_dword v[2:3], v0, off
	s_endpgm
	.section	.rodata,"a",@progbits
	.p2align	6, 0x0
	.amdhsa_kernel _ZN9rocsparse31csrmmnn_row_split_shared_kernelILj256ELj8EfiifffEEvNS_24const_host_device_scalarIT1_EES3_bbbT3_S4_llPKT2_PKS4_PKT4_PKT5_llPT6_ll16rocsparse_order_21rocsparse_index_base_
		.amdhsa_group_segment_fixed_size 2048
		.amdhsa_private_segment_fixed_size 0
		.amdhsa_kernarg_size 128
		.amdhsa_user_sgpr_count 6
		.amdhsa_user_sgpr_private_segment_buffer 1
		.amdhsa_user_sgpr_dispatch_ptr 0
		.amdhsa_user_sgpr_queue_ptr 0
		.amdhsa_user_sgpr_kernarg_segment_ptr 1
		.amdhsa_user_sgpr_dispatch_id 0
		.amdhsa_user_sgpr_flat_scratch_init 0
		.amdhsa_user_sgpr_kernarg_preload_length 0
		.amdhsa_user_sgpr_kernarg_preload_offset 0
		.amdhsa_user_sgpr_private_segment_size 0
		.amdhsa_uses_dynamic_stack 0
		.amdhsa_system_sgpr_private_segment_wavefront_offset 0
		.amdhsa_system_sgpr_workgroup_id_x 1
		.amdhsa_system_sgpr_workgroup_id_y 1
		.amdhsa_system_sgpr_workgroup_id_z 1
		.amdhsa_system_sgpr_workgroup_info 0
		.amdhsa_system_vgpr_workitem_id 0
		.amdhsa_next_free_vgpr 38
		.amdhsa_next_free_sgpr 44
		.amdhsa_accum_offset 40
		.amdhsa_reserve_vcc 1
		.amdhsa_reserve_flat_scratch 0
		.amdhsa_float_round_mode_32 0
		.amdhsa_float_round_mode_16_64 0
		.amdhsa_float_denorm_mode_32 3
		.amdhsa_float_denorm_mode_16_64 3
		.amdhsa_dx10_clamp 1
		.amdhsa_ieee_mode 1
		.amdhsa_fp16_overflow 0
		.amdhsa_tg_split 0
		.amdhsa_exception_fp_ieee_invalid_op 0
		.amdhsa_exception_fp_denorm_src 0
		.amdhsa_exception_fp_ieee_div_zero 0
		.amdhsa_exception_fp_ieee_overflow 0
		.amdhsa_exception_fp_ieee_underflow 0
		.amdhsa_exception_fp_ieee_inexact 0
		.amdhsa_exception_int_div_zero 0
	.end_amdhsa_kernel
	.section	.text._ZN9rocsparse31csrmmnn_row_split_shared_kernelILj256ELj8EfiifffEEvNS_24const_host_device_scalarIT1_EES3_bbbT3_S4_llPKT2_PKS4_PKT4_PKT5_llPT6_ll16rocsparse_order_21rocsparse_index_base_,"axG",@progbits,_ZN9rocsparse31csrmmnn_row_split_shared_kernelILj256ELj8EfiifffEEvNS_24const_host_device_scalarIT1_EES3_bbbT3_S4_llPKT2_PKS4_PKT4_PKT5_llPT6_ll16rocsparse_order_21rocsparse_index_base_,comdat
.Lfunc_end0:
	.size	_ZN9rocsparse31csrmmnn_row_split_shared_kernelILj256ELj8EfiifffEEvNS_24const_host_device_scalarIT1_EES3_bbbT3_S4_llPKT2_PKS4_PKT4_PKT5_llPT6_ll16rocsparse_order_21rocsparse_index_base_, .Lfunc_end0-_ZN9rocsparse31csrmmnn_row_split_shared_kernelILj256ELj8EfiifffEEvNS_24const_host_device_scalarIT1_EES3_bbbT3_S4_llPKT2_PKS4_PKT4_PKT5_llPT6_ll16rocsparse_order_21rocsparse_index_base_
                                        ; -- End function
	.section	.AMDGPU.csdata,"",@progbits
; Kernel info:
; codeLenInByte = 1556
; NumSgprs: 48
; NumVgprs: 38
; NumAgprs: 0
; TotalNumVgprs: 38
; ScratchSize: 0
; MemoryBound: 0
; FloatMode: 240
; IeeeMode: 1
; LDSByteSize: 2048 bytes/workgroup (compile time only)
; SGPRBlocks: 5
; VGPRBlocks: 4
; NumSGPRsForWavesPerEU: 48
; NumVGPRsForWavesPerEU: 38
; AccumOffset: 40
; Occupancy: 8
; WaveLimiterHint : 1
; COMPUTE_PGM_RSRC2:SCRATCH_EN: 0
; COMPUTE_PGM_RSRC2:USER_SGPR: 6
; COMPUTE_PGM_RSRC2:TRAP_HANDLER: 0
; COMPUTE_PGM_RSRC2:TGID_X_EN: 1
; COMPUTE_PGM_RSRC2:TGID_Y_EN: 1
; COMPUTE_PGM_RSRC2:TGID_Z_EN: 1
; COMPUTE_PGM_RSRC2:TIDIG_COMP_CNT: 0
; COMPUTE_PGM_RSRC3_GFX90A:ACCUM_OFFSET: 9
; COMPUTE_PGM_RSRC3_GFX90A:TG_SPLIT: 0
	.section	.text._ZN9rocsparse31csrmmnn_row_split_shared_kernelILj256ELj8EflifffEEvNS_24const_host_device_scalarIT1_EES3_bbbT3_S4_llPKT2_PKS4_PKT4_PKT5_llPT6_ll16rocsparse_order_21rocsparse_index_base_,"axG",@progbits,_ZN9rocsparse31csrmmnn_row_split_shared_kernelILj256ELj8EflifffEEvNS_24const_host_device_scalarIT1_EES3_bbbT3_S4_llPKT2_PKS4_PKT4_PKT5_llPT6_ll16rocsparse_order_21rocsparse_index_base_,comdat
	.protected	_ZN9rocsparse31csrmmnn_row_split_shared_kernelILj256ELj8EflifffEEvNS_24const_host_device_scalarIT1_EES3_bbbT3_S4_llPKT2_PKS4_PKT4_PKT5_llPT6_ll16rocsparse_order_21rocsparse_index_base_ ; -- Begin function _ZN9rocsparse31csrmmnn_row_split_shared_kernelILj256ELj8EflifffEEvNS_24const_host_device_scalarIT1_EES3_bbbT3_S4_llPKT2_PKS4_PKT4_PKT5_llPT6_ll16rocsparse_order_21rocsparse_index_base_
	.globl	_ZN9rocsparse31csrmmnn_row_split_shared_kernelILj256ELj8EflifffEEvNS_24const_host_device_scalarIT1_EES3_bbbT3_S4_llPKT2_PKS4_PKT4_PKT5_llPT6_ll16rocsparse_order_21rocsparse_index_base_
	.p2align	8
	.type	_ZN9rocsparse31csrmmnn_row_split_shared_kernelILj256ELj8EflifffEEvNS_24const_host_device_scalarIT1_EES3_bbbT3_S4_llPKT2_PKS4_PKT4_PKT5_llPT6_ll16rocsparse_order_21rocsparse_index_base_,@function
_ZN9rocsparse31csrmmnn_row_split_shared_kernelILj256ELj8EflifffEEvNS_24const_host_device_scalarIT1_EES3_bbbT3_S4_llPKT2_PKS4_PKT4_PKT5_llPT6_ll16rocsparse_order_21rocsparse_index_base_: ; @_ZN9rocsparse31csrmmnn_row_split_shared_kernelILj256ELj8EflifffEEvNS_24const_host_device_scalarIT1_EES3_bbbT3_S4_llPKT2_PKS4_PKT4_PKT5_llPT6_ll16rocsparse_order_21rocsparse_index_base_
; %bb.0:
	s_load_dwordx8 s[36:43], s[4:5], 0x0
	s_waitcnt lgkmcnt(0)
	s_bitcmp1_b32 s40, 0
	s_cselect_b64 s[2:3], -1, 0
	s_xor_b64 s[0:1], s[2:3], -1
	s_and_b64 vcc, exec, s[2:3]
	s_cbranch_vccnz .LBB1_2
; %bb.1:
	s_load_dword s36, s[36:37], 0x0
.LBB1_2:
	s_andn2_b64 vcc, exec, s[0:1]
	s_cbranch_vccnz .LBB1_4
; %bb.3:
	s_load_dword s38, s[38:39], 0x0
.LBB1_4:
	s_waitcnt lgkmcnt(0)
	v_cmp_eq_f32_e64 s[0:1], s36, 0
	v_cmp_eq_f32_e64 s[2:3], s38, 1.0
	s_and_b64 s[0:1], s[0:1], s[2:3]
	s_and_b64 vcc, exec, s[0:1]
	s_cbranch_vccnz .LBB1_21
; %bb.5:
	v_lshl_or_b32 v1, s6, 8, v0
	v_lshrrev_b32_e32 v9, 3, v1
	v_cmp_gt_i32_e32 vcc, s41, v9
	s_and_saveexec_b64 s[0:1], vcc
	s_cbranch_execz .LBB1_21
; %bb.6:
	s_load_dwordx16 s[12:27], s[4:5], 0x20
	s_ashr_i32 s9, s8, 31
	v_lshlrev_b32_e32 v1, 3, v9
	s_load_dwordx2 s[10:11], s[4:5], 0x78
	v_and_b32_e32 v8, 7, v0
	s_waitcnt lgkmcnt(0)
	s_mul_i32 s1, s8, s13
	s_mul_hi_u32 s2, s8, s12
	s_mul_i32 s3, s9, s12
	s_add_i32 s1, s2, s1
	s_mul_i32 s0, s8, s12
	s_add_i32 s1, s1, s3
	s_lshl_b64 s[0:1], s[0:1], 3
	s_add_u32 s0, s16, s0
	s_addc_u32 s1, s17, s1
	global_load_dwordx4 v[2:5], v1, s[0:1]
	v_lshl_or_b32 v6, s7, 3, v8
	v_ashrrev_i32_e32 v7, 31, v6
	v_mov_b32_e32 v12, 0
	s_waitcnt vmcnt(0)
	v_cmp_lt_i64_e32 vcc, v[2:3], v[4:5]
	s_and_saveexec_b64 s[2:3], vcc
	s_cbranch_execz .LBB1_14
; %bb.7:
	v_mad_u64_u32 v[18:19], s[0:1], v6, s24, 0
	s_mul_i32 s0, s8, s27
	s_mul_hi_u32 s1, s8, s26
	s_add_i32 s0, s1, s0
	s_mul_i32 s1, s9, s26
	v_lshlrev_b32_e32 v0, 2, v0
	s_add_i32 s1, s0, s1
	s_mul_i32 s0, s8, s26
	v_mul_lo_u32 v1, v7, s24
	v_mul_lo_u32 v12, v6, s25
	v_and_b32_e32 v13, 0x3e0, v0
	s_lshl_b64 s[0:1], s[0:1], 2
	v_add3_u32 v19, v19, v12, v1
	v_lshlrev_b32_e32 v1, 2, v8
	v_or_b32_e32 v15, 0x400, v13
	s_add_u32 s0, s0, s22
	v_or_b32_e32 v14, v13, v1
	v_or_b32_e32 v16, v15, v1
	v_lshlrev_b64 v[0:1], 2, v[18:19]
	s_addc_u32 s1, s1, s23
	v_mov_b32_e32 v18, s1
	v_add_co_u32_e64 v17, s[0:1], s0, v0
	v_addc_co_u32_e64 v18, s[0:1], v18, v1, s[0:1]
	s_mul_i32 s0, s9, s14
	s_mul_i32 s1, s8, s15
	v_mov_b32_e32 v0, s14
	s_add_i32 s7, s1, s0
	v_mad_u64_u32 v[0:1], s[0:1], s8, v0, v[2:3]
	s_mov_b32 s6, s11
	v_add_u32_e32 v1, s7, v1
	v_add_co_u32_e64 v0, s[0:1], v0, v8
	v_subrev_co_u32_e32 v4, vcc, s6, v4
	v_addc_co_u32_e64 v1, s[0:1], 0, v1, s[0:1]
	v_subbrev_co_u32_e32 v5, vcc, 0, v5, vcc
	v_subrev_co_u32_e64 v0, s[0:1], s6, v0
	v_subrev_co_u32_e32 v10, vcc, s6, v2
	v_subbrev_co_u32_e64 v1, s[0:1], 0, v1, s[0:1]
	v_subbrev_co_u32_e32 v11, vcc, 0, v3, vcc
	v_lshlrev_b64 v[2:3], 2, v[0:1]
	v_mov_b32_e32 v1, s19
	v_add_co_u32_e64 v0, s[0:1], s18, v2
	v_addc_co_u32_e64 v1, s[0:1], v1, v3, s[0:1]
	v_mov_b32_e32 v19, s21
	v_add_co_u32_e64 v2, s[0:1], s20, v2
	v_mov_b32_e32 v12, 0
	v_cmp_gt_i32_e32 vcc, s42, v6
	v_addc_co_u32_e64 v3, s[0:1], v19, v3, s[0:1]
	s_mov_b64 s[6:7], 0
	s_branch .LBB1_9
.LBB1_8:                                ;   in Loop: Header=BB1_9 Depth=1
	s_or_b64 exec, exec, s[12:13]
	v_add_co_u32_e64 v10, s[0:1], 8, v10
	v_addc_co_u32_e64 v11, s[0:1], 0, v11, s[0:1]
	v_add_co_u32_e64 v0, s[0:1], 32, v0
	v_addc_co_u32_e64 v1, s[0:1], 0, v1, s[0:1]
	v_cmp_ge_i64_e64 s[0:1], v[10:11], v[4:5]
	s_or_b64 s[6:7], s[0:1], s[6:7]
	v_add_co_u32_e64 v2, s[0:1], 32, v2
	v_addc_co_u32_e64 v3, s[0:1], 0, v3, s[0:1]
	s_andn2_b64 exec, exec, s[6:7]
	s_cbranch_execz .LBB1_13
.LBB1_9:                                ; =>This Inner Loop Header: Depth=1
	v_add_co_u32_e64 v20, s[0:1], v8, v10
	v_addc_co_u32_e64 v21, s[0:1], 0, v11, s[0:1]
	v_cmp_lt_i64_e64 s[0:1], v[20:21], v[4:5]
	v_mov_b32_e32 v20, 0
	v_mov_b32_e32 v19, 0
	s_barrier
	s_and_saveexec_b64 s[12:13], s[0:1]
	s_cbranch_execz .LBB1_11
; %bb.10:                               ;   in Loop: Header=BB1_9 Depth=1
	global_load_dword v20, v[0:1], off
	global_load_dword v19, v[2:3], off
	s_waitcnt vmcnt(1)
	v_subrev_u32_e32 v20, s11, v20
.LBB1_11:                               ;   in Loop: Header=BB1_9 Depth=1
	s_or_b64 exec, exec, s[12:13]
	ds_write_b32 v14, v20
	s_waitcnt vmcnt(0)
	ds_write_b32 v16, v19
	s_waitcnt lgkmcnt(0)
	s_barrier
	s_and_saveexec_b64 s[12:13], vcc
	s_cbranch_execz .LBB1_8
; %bb.12:                               ;   in Loop: Header=BB1_9 Depth=1
	ds_read_b128 v[20:23], v13
	ds_read_b128 v[24:27], v13 offset:16
	s_waitcnt lgkmcnt(1)
	v_ashrrev_i32_e32 v29, 31, v20
	v_mov_b32_e32 v28, v20
	v_lshlrev_b64 v[28:29], 2, v[28:29]
	v_add_co_u32_e64 v28, s[0:1], v17, v28
	v_ashrrev_i32_e32 v31, 31, v21
	v_mov_b32_e32 v30, v21
	v_addc_co_u32_e64 v29, s[0:1], v18, v29, s[0:1]
	v_lshlrev_b64 v[20:21], 2, v[30:31]
	v_add_co_u32_e64 v20, s[0:1], v17, v20
	v_ashrrev_i32_e32 v31, 31, v22
	v_mov_b32_e32 v30, v22
	v_addc_co_u32_e64 v21, s[0:1], v18, v21, s[0:1]
	;; [unrolled: 5-line block ×3, first 2 shown]
	v_lshlrev_b64 v[22:23], 2, v[32:33]
	v_add_co_u32_e64 v22, s[0:1], v17, v22
	s_waitcnt lgkmcnt(0)
	v_ashrrev_i32_e32 v33, 31, v24
	v_mov_b32_e32 v32, v24
	v_addc_co_u32_e64 v23, s[0:1], v18, v23, s[0:1]
	v_lshlrev_b64 v[32:33], 2, v[32:33]
	v_add_co_u32_e64 v32, s[0:1], v17, v32
	v_ashrrev_i32_e32 v35, 31, v25
	v_mov_b32_e32 v34, v25
	v_addc_co_u32_e64 v33, s[0:1], v18, v33, s[0:1]
	v_lshlrev_b64 v[24:25], 2, v[34:35]
	v_add_co_u32_e64 v24, s[0:1], v17, v24
	;; [unrolled: 5-line block ×4, first 2 shown]
	v_addc_co_u32_e64 v27, s[0:1], v18, v27, s[0:1]
	global_load_dword v19, v[28:29], off
	global_load_dword v36, v[20:21], off
	;; [unrolled: 1-line block ×8, first 2 shown]
	ds_read_b128 v[20:23], v15
	ds_read_b128 v[24:27], v15 offset:16
	s_waitcnt vmcnt(7) lgkmcnt(1)
	v_fmac_f32_e32 v12, v20, v19
	s_waitcnt vmcnt(6)
	v_fmac_f32_e32 v12, v21, v36
	s_waitcnt vmcnt(5)
	;; [unrolled: 2-line block ×3, first 2 shown]
	v_fmac_f32_e32 v12, v23, v38
	s_waitcnt vmcnt(3) lgkmcnt(0)
	v_fmac_f32_e32 v12, v24, v39
	s_waitcnt vmcnt(2)
	v_fmac_f32_e32 v12, v25, v40
	s_waitcnt vmcnt(1)
	;; [unrolled: 2-line block ×3, first 2 shown]
	v_fmac_f32_e32 v12, v27, v42
	s_branch .LBB1_8
.LBB1_13:
	s_or_b64 exec, exec, s[6:7]
.LBB1_14:
	s_or_b64 exec, exec, s[2:3]
	v_cmp_gt_i32_e32 vcc, s42, v6
	s_and_b64 exec, exec, vcc
	s_cbranch_execz .LBB1_21
; %bb.15:
	s_load_dwordx4 s[0:3], s[4:5], 0x60
	s_load_dwordx2 s[14:15], s[4:5], 0x70
	v_cmp_neq_f32_e64 s[4:5], s38, 0
	s_cmp_lg_u32 s10, 1
	s_cselect_b64 s[6:7], -1, 0
	s_and_b64 vcc, exec, s[4:5]
	v_mul_f32_e32 v0, s36, v12
	s_waitcnt lgkmcnt(0)
	s_mul_i32 s10, s8, s15
	s_mul_hi_u32 s11, s8, s14
	s_mul_i32 s12, s9, s14
	s_mul_i32 s4, s8, s14
	s_cbranch_vccz .LBB1_22
; %bb.16:
	s_add_i32 s5, s11, s10
	s_add_i32 s5, s5, s12
	s_mov_b64 s[8:9], -1
	s_and_b64 vcc, exec, s[6:7]
	s_cbranch_vccz .LBB1_18
; %bb.17:
	v_mad_u64_u32 v[2:3], s[8:9], v9, s2, 0
	v_mov_b32_e32 v4, v3
	v_mad_u64_u32 v[4:5], s[8:9], v9, s3, v[4:5]
	v_mov_b32_e32 v3, v4
	v_lshlrev_b64 v[2:3], 2, v[2:3]
	v_mov_b32_e32 v1, s1
	v_add_co_u32_e32 v4, vcc, s0, v2
	v_addc_co_u32_e32 v1, vcc, v1, v3, vcc
	v_lshlrev_b64 v[2:3], 2, v[6:7]
	v_add_co_u32_e32 v2, vcc, v4, v2
	v_addc_co_u32_e32 v1, vcc, v1, v3, vcc
	s_lshl_b64 s[8:9], s[4:5], 2
	v_mov_b32_e32 v3, s9
	v_add_co_u32_e32 v2, vcc, s8, v2
	v_addc_co_u32_e32 v3, vcc, v1, v3, vcc
	global_load_dword v1, v[2:3], off
	s_mov_b64 s[8:9], 0
	s_waitcnt vmcnt(0)
	v_fma_f32 v1, s38, v1, v0
	global_store_dword v[2:3], v1, off
.LBB1_18:
	s_andn2_b64 vcc, exec, s[8:9]
	s_cbranch_vccnz .LBB1_20
; %bb.19:
	v_mul_lo_u32 v1, v7, s2
	v_mul_lo_u32 v4, v6, s3
	v_mad_u64_u32 v[2:3], s[8:9], v6, s2, 0
	v_add3_u32 v3, v3, v4, v1
	v_lshlrev_b64 v[2:3], 2, v[2:3]
	v_mov_b32_e32 v1, s1
	v_add_co_u32_e32 v2, vcc, s0, v2
	v_addc_co_u32_e32 v1, vcc, v1, v3, vcc
	v_lshlrev_b32_e32 v3, 2, v9
	v_add_co_u32_e32 v2, vcc, v2, v3
	v_addc_co_u32_e32 v1, vcc, 0, v1, vcc
	s_lshl_b64 s[8:9], s[4:5], 2
	v_mov_b32_e32 v3, s9
	v_add_co_u32_e32 v2, vcc, s8, v2
	v_addc_co_u32_e32 v3, vcc, v1, v3, vcc
	global_load_dword v1, v[2:3], off
	s_waitcnt vmcnt(0)
	v_fma_f32 v1, s38, v1, v0
	global_store_dword v[2:3], v1, off
.LBB1_20:
	s_cbranch_execz .LBB1_23
.LBB1_21:
	s_endpgm
.LBB1_22:
.LBB1_23:
	s_add_i32 s5, s11, s10
	s_add_i32 s5, s5, s12
	s_mov_b64 s[8:9], -1
	s_and_b64 vcc, exec, s[6:7]
	s_cbranch_vccz .LBB1_25
; %bb.24:
	v_mad_u64_u32 v[2:3], s[6:7], v9, s2, 0
	v_mov_b32_e32 v4, v3
	v_mad_u64_u32 v[4:5], s[6:7], v9, s3, v[4:5]
	v_mov_b32_e32 v3, v4
	v_lshlrev_b64 v[2:3], 2, v[2:3]
	v_mov_b32_e32 v1, s1
	v_add_co_u32_e32 v4, vcc, s0, v2
	v_addc_co_u32_e32 v1, vcc, v1, v3, vcc
	v_lshlrev_b64 v[2:3], 2, v[6:7]
	v_add_co_u32_e32 v2, vcc, v4, v2
	v_addc_co_u32_e32 v1, vcc, v1, v3, vcc
	s_lshl_b64 s[6:7], s[4:5], 2
	v_mov_b32_e32 v3, s7
	v_add_co_u32_e32 v2, vcc, s6, v2
	v_addc_co_u32_e32 v3, vcc, v1, v3, vcc
	global_store_dword v[2:3], v0, off
	s_mov_b64 s[8:9], 0
.LBB1_25:
	s_andn2_b64 vcc, exec, s[8:9]
	s_cbranch_vccnz .LBB1_21
; %bb.26:
	v_mul_lo_u32 v1, v7, s2
	v_mul_lo_u32 v4, v6, s3
	v_mad_u64_u32 v[2:3], s[2:3], v6, s2, 0
	v_add3_u32 v3, v3, v4, v1
	v_lshlrev_b64 v[2:3], 2, v[2:3]
	v_mov_b32_e32 v1, s1
	v_add_co_u32_e32 v2, vcc, s0, v2
	v_addc_co_u32_e32 v1, vcc, v1, v3, vcc
	v_lshlrev_b32_e32 v3, 2, v9
	v_add_co_u32_e32 v2, vcc, v2, v3
	v_addc_co_u32_e32 v1, vcc, 0, v1, vcc
	s_lshl_b64 s[0:1], s[4:5], 2
	v_mov_b32_e32 v3, s1
	v_add_co_u32_e32 v2, vcc, s0, v2
	v_addc_co_u32_e32 v3, vcc, v1, v3, vcc
	global_store_dword v[2:3], v0, off
	s_endpgm
	.section	.rodata,"a",@progbits
	.p2align	6, 0x0
	.amdhsa_kernel _ZN9rocsparse31csrmmnn_row_split_shared_kernelILj256ELj8EflifffEEvNS_24const_host_device_scalarIT1_EES3_bbbT3_S4_llPKT2_PKS4_PKT4_PKT5_llPT6_ll16rocsparse_order_21rocsparse_index_base_
		.amdhsa_group_segment_fixed_size 2048
		.amdhsa_private_segment_fixed_size 0
		.amdhsa_kernarg_size 128
		.amdhsa_user_sgpr_count 6
		.amdhsa_user_sgpr_private_segment_buffer 1
		.amdhsa_user_sgpr_dispatch_ptr 0
		.amdhsa_user_sgpr_queue_ptr 0
		.amdhsa_user_sgpr_kernarg_segment_ptr 1
		.amdhsa_user_sgpr_dispatch_id 0
		.amdhsa_user_sgpr_flat_scratch_init 0
		.amdhsa_user_sgpr_kernarg_preload_length 0
		.amdhsa_user_sgpr_kernarg_preload_offset 0
		.amdhsa_user_sgpr_private_segment_size 0
		.amdhsa_uses_dynamic_stack 0
		.amdhsa_system_sgpr_private_segment_wavefront_offset 0
		.amdhsa_system_sgpr_workgroup_id_x 1
		.amdhsa_system_sgpr_workgroup_id_y 1
		.amdhsa_system_sgpr_workgroup_id_z 1
		.amdhsa_system_sgpr_workgroup_info 0
		.amdhsa_system_vgpr_workitem_id 0
		.amdhsa_next_free_vgpr 43
		.amdhsa_next_free_sgpr 44
		.amdhsa_accum_offset 44
		.amdhsa_reserve_vcc 1
		.amdhsa_reserve_flat_scratch 0
		.amdhsa_float_round_mode_32 0
		.amdhsa_float_round_mode_16_64 0
		.amdhsa_float_denorm_mode_32 3
		.amdhsa_float_denorm_mode_16_64 3
		.amdhsa_dx10_clamp 1
		.amdhsa_ieee_mode 1
		.amdhsa_fp16_overflow 0
		.amdhsa_tg_split 0
		.amdhsa_exception_fp_ieee_invalid_op 0
		.amdhsa_exception_fp_denorm_src 0
		.amdhsa_exception_fp_ieee_div_zero 0
		.amdhsa_exception_fp_ieee_overflow 0
		.amdhsa_exception_fp_ieee_underflow 0
		.amdhsa_exception_fp_ieee_inexact 0
		.amdhsa_exception_int_div_zero 0
	.end_amdhsa_kernel
	.section	.text._ZN9rocsparse31csrmmnn_row_split_shared_kernelILj256ELj8EflifffEEvNS_24const_host_device_scalarIT1_EES3_bbbT3_S4_llPKT2_PKS4_PKT4_PKT5_llPT6_ll16rocsparse_order_21rocsparse_index_base_,"axG",@progbits,_ZN9rocsparse31csrmmnn_row_split_shared_kernelILj256ELj8EflifffEEvNS_24const_host_device_scalarIT1_EES3_bbbT3_S4_llPKT2_PKS4_PKT4_PKT5_llPT6_ll16rocsparse_order_21rocsparse_index_base_,comdat
.Lfunc_end1:
	.size	_ZN9rocsparse31csrmmnn_row_split_shared_kernelILj256ELj8EflifffEEvNS_24const_host_device_scalarIT1_EES3_bbbT3_S4_llPKT2_PKS4_PKT4_PKT5_llPT6_ll16rocsparse_order_21rocsparse_index_base_, .Lfunc_end1-_ZN9rocsparse31csrmmnn_row_split_shared_kernelILj256ELj8EflifffEEvNS_24const_host_device_scalarIT1_EES3_bbbT3_S4_llPKT2_PKS4_PKT4_PKT5_llPT6_ll16rocsparse_order_21rocsparse_index_base_
                                        ; -- End function
	.section	.AMDGPU.csdata,"",@progbits
; Kernel info:
; codeLenInByte = 1644
; NumSgprs: 48
; NumVgprs: 43
; NumAgprs: 0
; TotalNumVgprs: 43
; ScratchSize: 0
; MemoryBound: 0
; FloatMode: 240
; IeeeMode: 1
; LDSByteSize: 2048 bytes/workgroup (compile time only)
; SGPRBlocks: 5
; VGPRBlocks: 5
; NumSGPRsForWavesPerEU: 48
; NumVGPRsForWavesPerEU: 43
; AccumOffset: 44
; Occupancy: 8
; WaveLimiterHint : 1
; COMPUTE_PGM_RSRC2:SCRATCH_EN: 0
; COMPUTE_PGM_RSRC2:USER_SGPR: 6
; COMPUTE_PGM_RSRC2:TRAP_HANDLER: 0
; COMPUTE_PGM_RSRC2:TGID_X_EN: 1
; COMPUTE_PGM_RSRC2:TGID_Y_EN: 1
; COMPUTE_PGM_RSRC2:TGID_Z_EN: 1
; COMPUTE_PGM_RSRC2:TIDIG_COMP_CNT: 0
; COMPUTE_PGM_RSRC3_GFX90A:ACCUM_OFFSET: 10
; COMPUTE_PGM_RSRC3_GFX90A:TG_SPLIT: 0
	.section	.text._ZN9rocsparse31csrmmnn_row_split_shared_kernelILj256ELj8EfllfffEEvNS_24const_host_device_scalarIT1_EES3_bbbT3_S4_llPKT2_PKS4_PKT4_PKT5_llPT6_ll16rocsparse_order_21rocsparse_index_base_,"axG",@progbits,_ZN9rocsparse31csrmmnn_row_split_shared_kernelILj256ELj8EfllfffEEvNS_24const_host_device_scalarIT1_EES3_bbbT3_S4_llPKT2_PKS4_PKT4_PKT5_llPT6_ll16rocsparse_order_21rocsparse_index_base_,comdat
	.protected	_ZN9rocsparse31csrmmnn_row_split_shared_kernelILj256ELj8EfllfffEEvNS_24const_host_device_scalarIT1_EES3_bbbT3_S4_llPKT2_PKS4_PKT4_PKT5_llPT6_ll16rocsparse_order_21rocsparse_index_base_ ; -- Begin function _ZN9rocsparse31csrmmnn_row_split_shared_kernelILj256ELj8EfllfffEEvNS_24const_host_device_scalarIT1_EES3_bbbT3_S4_llPKT2_PKS4_PKT4_PKT5_llPT6_ll16rocsparse_order_21rocsparse_index_base_
	.globl	_ZN9rocsparse31csrmmnn_row_split_shared_kernelILj256ELj8EfllfffEEvNS_24const_host_device_scalarIT1_EES3_bbbT3_S4_llPKT2_PKS4_PKT4_PKT5_llPT6_ll16rocsparse_order_21rocsparse_index_base_
	.p2align	8
	.type	_ZN9rocsparse31csrmmnn_row_split_shared_kernelILj256ELj8EfllfffEEvNS_24const_host_device_scalarIT1_EES3_bbbT3_S4_llPKT2_PKS4_PKT4_PKT5_llPT6_ll16rocsparse_order_21rocsparse_index_base_,@function
_ZN9rocsparse31csrmmnn_row_split_shared_kernelILj256ELj8EfllfffEEvNS_24const_host_device_scalarIT1_EES3_bbbT3_S4_llPKT2_PKS4_PKT4_PKT5_llPT6_ll16rocsparse_order_21rocsparse_index_base_: ; @_ZN9rocsparse31csrmmnn_row_split_shared_kernelILj256ELj8EfllfffEEvNS_24const_host_device_scalarIT1_EES3_bbbT3_S4_llPKT2_PKS4_PKT4_PKT5_llPT6_ll16rocsparse_order_21rocsparse_index_base_
; %bb.0:
	s_load_dword s0, s[4:5], 0x10
	s_load_dwordx4 s[28:31], s[4:5], 0x0
	s_waitcnt lgkmcnt(0)
	s_bitcmp1_b32 s0, 0
	s_cselect_b64 s[2:3], -1, 0
	s_xor_b64 s[0:1], s[2:3], -1
	s_and_b64 vcc, exec, s[2:3]
	s_cbranch_vccnz .LBB2_2
; %bb.1:
	s_load_dword s28, s[28:29], 0x0
.LBB2_2:
	s_andn2_b64 vcc, exec, s[0:1]
	s_cbranch_vccnz .LBB2_4
; %bb.3:
	s_load_dword s30, s[30:31], 0x0
.LBB2_4:
	s_waitcnt lgkmcnt(0)
	v_cmp_eq_f32_e64 s[0:1], s28, 0
	v_cmp_eq_f32_e64 s[2:3], s30, 1.0
	s_and_b64 s[0:1], s[0:1], s[2:3]
	s_and_b64 vcc, exec, s[0:1]
	s_cbranch_vccnz .LBB2_21
; %bb.5:
	s_load_dwordx16 s[12:27], s[4:5], 0x18
	v_lshl_or_b32 v1, s6, 8, v0
	v_lshrrev_b32_e32 v6, 3, v1
	v_mov_b32_e32 v7, 0
	s_waitcnt lgkmcnt(0)
	v_cmp_gt_i64_e32 vcc, s[12:13], v[6:7]
	s_and_saveexec_b64 s[0:1], vcc
	s_cbranch_execz .LBB2_21
; %bb.6:
	s_mul_i32 s0, s8, s17
	s_mul_hi_u32 s1, s8, s16
	s_add_i32 s1, s1, s0
	s_mul_i32 s0, s8, s16
	s_lshl_b64 s[0:1], s[0:1], 3
	s_add_u32 s0, s20, s0
	s_addc_u32 s1, s21, s1
	v_lshlrev_b32_e32 v1, 3, v6
	global_load_dwordx4 v[2:5], v1, s[0:1]
	s_load_dwordx8 s[36:43], s[4:5], 0x58
	s_load_dwordx4 s[44:47], s[4:5], 0x78
	v_and_b32_e32 v10, 7, v0
	v_lshl_or_b32 v8, s7, 3, v10
	s_mov_b32 s9, 0
	v_mov_b32_e32 v9, 0
	s_waitcnt vmcnt(0)
	v_cmp_lt_i64_e32 vcc, v[2:3], v[4:5]
	s_and_saveexec_b64 s[2:3], vcc
	s_cbranch_execz .LBB2_14
; %bb.7:
	s_waitcnt lgkmcnt(0)
	v_mad_u64_u32 v[12:13], s[0:1], v8, s36, 0
	v_mov_b32_e32 v14, v13
	v_mad_u64_u32 v[14:15], s[0:1], v8, s37, v[14:15]
	s_mul_i32 s0, s8, s39
	s_mul_hi_u32 s1, s8, s38
	s_add_i32 s1, s1, s0
	s_mul_i32 s0, s8, s38
	s_lshl_b64 s[0:1], s[0:1], 2
	s_mov_b32 s10, s47
	v_mov_b32_e32 v13, v14
	s_add_u32 s0, s0, s26
	v_subrev_co_u32_e32 v4, vcc, s10, v4
	v_lshrrev_b32_e32 v7, 3, v0
	v_mov_b32_e32 v14, 0x800
	v_lshlrev_b64 v[12:13], 2, v[12:13]
	s_addc_u32 s1, s1, s27
	v_subbrev_co_u32_e32 v5, vcc, 0, v5, vcc
	v_lshlrev_b32_e32 v11, 6, v7
	v_lshl_or_b32 v17, v7, 5, v14
	v_mov_b32_e32 v7, s1
	v_add_co_u32_e64 v19, s[0:1], s0, v12
	v_subrev_co_u32_e32 v0, vcc, s10, v2
	v_addc_co_u32_e64 v20, s[0:1], v7, v13, s[0:1]
	v_mov_b32_e32 v7, s18
	v_subbrev_co_u32_e32 v1, vcc, 0, v3, vcc
	v_mad_u64_u32 v[2:3], s[0:1], s8, v7, v[2:3]
	s_mul_i32 s0, s8, s19
	v_add_u32_e32 v3, s0, v3
	v_add_co_u32_e64 v2, s[0:1], v2, v10
	v_addc_co_u32_e64 v3, s[0:1], 0, v3, s[0:1]
	v_subrev_co_u32_e64 v12, s[0:1], s10, v2
	v_subbrev_co_u32_e64 v13, s[0:1], 0, v3, s[0:1]
	v_lshlrev_b64 v[2:3], 3, v[12:13]
	v_mov_b32_e32 v7, s23
	v_add_co_u32_e64 v2, s[0:1], s22, v2
	v_addc_co_u32_e64 v3, s[0:1], v7, v3, s[0:1]
	v_lshlrev_b64 v[12:13], 2, v[12:13]
	v_mov_b32_e32 v7, s25
	v_add_co_u32_e64 v12, s[0:1], s24, v12
	v_lshl_or_b32 v16, v10, 3, v11
	v_lshl_or_b32 v18, v10, 2, v17
	v_cmp_gt_i64_e32 vcc, s[14:15], v[8:9]
	v_addc_co_u32_e64 v13, s[0:1], v7, v13, s[0:1]
	s_mov_b64 s[4:5], 0
	v_mov_b32_e32 v7, v9
	s_branch .LBB2_9
.LBB2_8:                                ;   in Loop: Header=BB2_9 Depth=1
	s_or_b64 exec, exec, s[6:7]
	v_add_co_u32_e64 v0, s[0:1], 8, v0
	v_addc_co_u32_e64 v1, s[0:1], 0, v1, s[0:1]
	v_add_co_u32_e64 v2, s[0:1], 64, v2
	v_addc_co_u32_e64 v3, s[0:1], 0, v3, s[0:1]
	v_cmp_ge_i64_e64 s[0:1], v[0:1], v[4:5]
	s_or_b64 s[4:5], s[0:1], s[4:5]
	v_add_co_u32_e64 v12, s[0:1], 32, v12
	v_addc_co_u32_e64 v13, s[0:1], 0, v13, s[0:1]
	s_andn2_b64 exec, exec, s[4:5]
	s_cbranch_execz .LBB2_13
.LBB2_9:                                ; =>This Inner Loop Header: Depth=1
	v_add_co_u32_e64 v14, s[0:1], v10, v0
	v_addc_co_u32_e64 v15, s[0:1], 0, v1, s[0:1]
	v_cmp_lt_i64_e64 s[0:1], v[14:15], v[4:5]
	v_pk_mov_b32 v[14:15], 0, 0
	v_mov_b32_e32 v21, 0
	s_barrier
	s_and_saveexec_b64 s[6:7], s[0:1]
	s_cbranch_execz .LBB2_11
; %bb.10:                               ;   in Loop: Header=BB2_9 Depth=1
	global_load_dwordx2 v[14:15], v[2:3], off
	global_load_dword v21, v[12:13], off
	v_mov_b32_e32 v22, s9
	s_waitcnt vmcnt(1)
	v_subrev_co_u32_e64 v14, s[0:1], s10, v14
	v_subb_co_u32_e64 v15, s[0:1], v15, v22, s[0:1]
.LBB2_11:                               ;   in Loop: Header=BB2_9 Depth=1
	s_or_b64 exec, exec, s[6:7]
	ds_write_b64 v16, v[14:15]
	s_waitcnt vmcnt(0)
	ds_write_b32 v18, v21
	s_waitcnt lgkmcnt(0)
	s_barrier
	s_and_saveexec_b64 s[6:7], vcc
	s_cbranch_execz .LBB2_8
; %bb.12:                               ;   in Loop: Header=BB2_9 Depth=1
	ds_read_b128 v[22:25], v11
	ds_read_b128 v[26:29], v11 offset:16
	ds_read_b128 v[30:33], v11 offset:32
	;; [unrolled: 1-line block ×3, first 2 shown]
	s_waitcnt lgkmcnt(3)
	v_lshlrev_b64 v[14:15], 2, v[22:23]
	v_add_co_u32_e64 v14, s[0:1], v19, v14
	v_addc_co_u32_e64 v15, s[0:1], v20, v15, s[0:1]
	v_lshlrev_b64 v[22:23], 2, v[24:25]
	v_add_co_u32_e64 v22, s[0:1], v19, v22
	v_addc_co_u32_e64 v23, s[0:1], v20, v23, s[0:1]
	s_waitcnt lgkmcnt(2)
	v_lshlrev_b64 v[24:25], 2, v[26:27]
	v_add_co_u32_e64 v24, s[0:1], v19, v24
	v_addc_co_u32_e64 v25, s[0:1], v20, v25, s[0:1]
	v_lshlrev_b64 v[26:27], 2, v[28:29]
	v_add_co_u32_e64 v26, s[0:1], v19, v26
	v_addc_co_u32_e64 v27, s[0:1], v20, v27, s[0:1]
	;; [unrolled: 7-line block ×4, first 2 shown]
	global_load_dword v21, v[14:15], off
	global_load_dword v36, v[22:23], off
	;; [unrolled: 1-line block ×8, first 2 shown]
	ds_read_b128 v[22:25], v17
	ds_read_b128 v[26:29], v17 offset:16
	s_waitcnt vmcnt(7) lgkmcnt(1)
	v_fmac_f32_e32 v7, v22, v21
	s_waitcnt vmcnt(6)
	v_fmac_f32_e32 v7, v23, v36
	s_waitcnt vmcnt(5)
	;; [unrolled: 2-line block ×3, first 2 shown]
	v_fmac_f32_e32 v7, v25, v38
	s_waitcnt vmcnt(3) lgkmcnt(0)
	v_fmac_f32_e32 v7, v26, v39
	s_waitcnt vmcnt(2)
	v_fmac_f32_e32 v7, v27, v40
	s_waitcnt vmcnt(1)
	;; [unrolled: 2-line block ×3, first 2 shown]
	v_fmac_f32_e32 v7, v29, v42
	s_branch .LBB2_8
.LBB2_13:
	s_or_b64 exec, exec, s[4:5]
.LBB2_14:
	s_or_b64 exec, exec, s[2:3]
	v_cmp_gt_i64_e32 vcc, s[14:15], v[8:9]
	s_and_b64 exec, exec, vcc
	s_cbranch_execz .LBB2_21
; %bb.15:
	v_cmp_neq_f32_e64 s[0:1], s30, 0
	s_waitcnt lgkmcnt(0)
	s_cmp_lg_u32 s46, 1
	s_cselect_b64 s[2:3], -1, 0
	s_and_b64 vcc, exec, s[0:1]
	v_mul_f32_e32 v0, s28, v7
	s_mul_i32 s6, s8, s45
	s_mul_hi_u32 s7, s8, s44
	s_mul_i32 s0, s8, s44
	s_cbranch_vccz .LBB2_22
; %bb.16:
	s_add_i32 s1, s7, s6
	s_mov_b64 s[4:5], -1
	s_and_b64 vcc, exec, s[2:3]
	s_cbranch_vccz .LBB2_18
; %bb.17:
	v_mad_u64_u32 v[2:3], s[4:5], v6, s42, 0
	v_mov_b32_e32 v4, v3
	v_mad_u64_u32 v[4:5], s[4:5], v6, s43, v[4:5]
	v_mov_b32_e32 v3, v4
	v_lshlrev_b64 v[2:3], 2, v[2:3]
	v_mov_b32_e32 v1, s41
	v_add_co_u32_e32 v4, vcc, s40, v2
	v_addc_co_u32_e32 v1, vcc, v1, v3, vcc
	v_lshlrev_b64 v[2:3], 2, v[8:9]
	v_add_co_u32_e32 v2, vcc, v4, v2
	v_addc_co_u32_e32 v1, vcc, v1, v3, vcc
	s_lshl_b64 s[4:5], s[0:1], 2
	v_mov_b32_e32 v3, s5
	v_add_co_u32_e32 v2, vcc, s4, v2
	v_addc_co_u32_e32 v3, vcc, v1, v3, vcc
	global_load_dword v1, v[2:3], off
	s_mov_b64 s[4:5], 0
	s_waitcnt vmcnt(0)
	v_fma_f32 v1, s30, v1, v0
	global_store_dword v[2:3], v1, off
.LBB2_18:
	s_andn2_b64 vcc, exec, s[4:5]
	s_cbranch_vccnz .LBB2_20
; %bb.19:
	v_mad_u64_u32 v[2:3], s[4:5], v8, s42, 0
	v_mov_b32_e32 v4, v3
	v_mad_u64_u32 v[4:5], s[4:5], v8, s43, v[4:5]
	v_mov_b32_e32 v3, v4
	v_lshlrev_b64 v[2:3], 2, v[2:3]
	v_mov_b32_e32 v1, s41
	v_add_co_u32_e32 v2, vcc, s40, v2
	v_addc_co_u32_e32 v1, vcc, v1, v3, vcc
	v_lshlrev_b32_e32 v3, 2, v6
	v_add_co_u32_e32 v2, vcc, v2, v3
	v_addc_co_u32_e32 v1, vcc, 0, v1, vcc
	s_lshl_b64 s[4:5], s[0:1], 2
	v_mov_b32_e32 v3, s5
	v_add_co_u32_e32 v2, vcc, s4, v2
	v_addc_co_u32_e32 v3, vcc, v1, v3, vcc
	global_load_dword v1, v[2:3], off
	s_waitcnt vmcnt(0)
	v_fma_f32 v1, s30, v1, v0
	global_store_dword v[2:3], v1, off
.LBB2_20:
	s_cbranch_execz .LBB2_23
.LBB2_21:
	s_endpgm
.LBB2_22:
.LBB2_23:
	s_add_i32 s1, s7, s6
	s_mov_b64 s[4:5], -1
	s_and_b64 vcc, exec, s[2:3]
	s_cbranch_vccz .LBB2_25
; %bb.24:
	v_mad_u64_u32 v[2:3], s[2:3], v6, s42, 0
	v_mov_b32_e32 v4, v3
	v_mad_u64_u32 v[4:5], s[2:3], v6, s43, v[4:5]
	v_mov_b32_e32 v3, v4
	v_lshlrev_b64 v[2:3], 2, v[2:3]
	v_mov_b32_e32 v1, s41
	v_add_co_u32_e32 v4, vcc, s40, v2
	v_addc_co_u32_e32 v1, vcc, v1, v3, vcc
	v_lshlrev_b64 v[2:3], 2, v[8:9]
	v_add_co_u32_e32 v2, vcc, v4, v2
	v_addc_co_u32_e32 v1, vcc, v1, v3, vcc
	s_lshl_b64 s[2:3], s[0:1], 2
	v_mov_b32_e32 v3, s3
	v_add_co_u32_e32 v2, vcc, s2, v2
	v_addc_co_u32_e32 v3, vcc, v1, v3, vcc
	global_store_dword v[2:3], v0, off
	s_mov_b64 s[4:5], 0
.LBB2_25:
	s_andn2_b64 vcc, exec, s[4:5]
	s_cbranch_vccnz .LBB2_21
; %bb.26:
	v_mad_u64_u32 v[2:3], s[2:3], v8, s42, 0
	v_mov_b32_e32 v4, v3
	v_mad_u64_u32 v[4:5], s[2:3], v8, s43, v[4:5]
	v_mov_b32_e32 v3, v4
	v_lshlrev_b64 v[2:3], 2, v[2:3]
	v_mov_b32_e32 v1, s41
	v_add_co_u32_e32 v2, vcc, s40, v2
	v_addc_co_u32_e32 v1, vcc, v1, v3, vcc
	v_lshlrev_b32_e32 v3, 2, v6
	v_add_co_u32_e32 v2, vcc, v2, v3
	v_addc_co_u32_e32 v1, vcc, 0, v1, vcc
	s_lshl_b64 s[0:1], s[0:1], 2
	v_mov_b32_e32 v3, s1
	v_add_co_u32_e32 v2, vcc, s0, v2
	v_addc_co_u32_e32 v3, vcc, v1, v3, vcc
	global_store_dword v[2:3], v0, off
	s_endpgm
	.section	.rodata,"a",@progbits
	.p2align	6, 0x0
	.amdhsa_kernel _ZN9rocsparse31csrmmnn_row_split_shared_kernelILj256ELj8EfllfffEEvNS_24const_host_device_scalarIT1_EES3_bbbT3_S4_llPKT2_PKS4_PKT4_PKT5_llPT6_ll16rocsparse_order_21rocsparse_index_base_
		.amdhsa_group_segment_fixed_size 3072
		.amdhsa_private_segment_fixed_size 0
		.amdhsa_kernarg_size 136
		.amdhsa_user_sgpr_count 6
		.amdhsa_user_sgpr_private_segment_buffer 1
		.amdhsa_user_sgpr_dispatch_ptr 0
		.amdhsa_user_sgpr_queue_ptr 0
		.amdhsa_user_sgpr_kernarg_segment_ptr 1
		.amdhsa_user_sgpr_dispatch_id 0
		.amdhsa_user_sgpr_flat_scratch_init 0
		.amdhsa_user_sgpr_kernarg_preload_length 0
		.amdhsa_user_sgpr_kernarg_preload_offset 0
		.amdhsa_user_sgpr_private_segment_size 0
		.amdhsa_uses_dynamic_stack 0
		.amdhsa_system_sgpr_private_segment_wavefront_offset 0
		.amdhsa_system_sgpr_workgroup_id_x 1
		.amdhsa_system_sgpr_workgroup_id_y 1
		.amdhsa_system_sgpr_workgroup_id_z 1
		.amdhsa_system_sgpr_workgroup_info 0
		.amdhsa_system_vgpr_workitem_id 0
		.amdhsa_next_free_vgpr 43
		.amdhsa_next_free_sgpr 48
		.amdhsa_accum_offset 44
		.amdhsa_reserve_vcc 1
		.amdhsa_reserve_flat_scratch 0
		.amdhsa_float_round_mode_32 0
		.amdhsa_float_round_mode_16_64 0
		.amdhsa_float_denorm_mode_32 3
		.amdhsa_float_denorm_mode_16_64 3
		.amdhsa_dx10_clamp 1
		.amdhsa_ieee_mode 1
		.amdhsa_fp16_overflow 0
		.amdhsa_tg_split 0
		.amdhsa_exception_fp_ieee_invalid_op 0
		.amdhsa_exception_fp_denorm_src 0
		.amdhsa_exception_fp_ieee_div_zero 0
		.amdhsa_exception_fp_ieee_overflow 0
		.amdhsa_exception_fp_ieee_underflow 0
		.amdhsa_exception_fp_ieee_inexact 0
		.amdhsa_exception_int_div_zero 0
	.end_amdhsa_kernel
	.section	.text._ZN9rocsparse31csrmmnn_row_split_shared_kernelILj256ELj8EfllfffEEvNS_24const_host_device_scalarIT1_EES3_bbbT3_S4_llPKT2_PKS4_PKT4_PKT5_llPT6_ll16rocsparse_order_21rocsparse_index_base_,"axG",@progbits,_ZN9rocsparse31csrmmnn_row_split_shared_kernelILj256ELj8EfllfffEEvNS_24const_host_device_scalarIT1_EES3_bbbT3_S4_llPKT2_PKS4_PKT4_PKT5_llPT6_ll16rocsparse_order_21rocsparse_index_base_,comdat
.Lfunc_end2:
	.size	_ZN9rocsparse31csrmmnn_row_split_shared_kernelILj256ELj8EfllfffEEvNS_24const_host_device_scalarIT1_EES3_bbbT3_S4_llPKT2_PKS4_PKT4_PKT5_llPT6_ll16rocsparse_order_21rocsparse_index_base_, .Lfunc_end2-_ZN9rocsparse31csrmmnn_row_split_shared_kernelILj256ELj8EfllfffEEvNS_24const_host_device_scalarIT1_EES3_bbbT3_S4_llPKT2_PKS4_PKT4_PKT5_llPT6_ll16rocsparse_order_21rocsparse_index_base_
                                        ; -- End function
	.section	.AMDGPU.csdata,"",@progbits
; Kernel info:
; codeLenInByte = 1584
; NumSgprs: 52
; NumVgprs: 43
; NumAgprs: 0
; TotalNumVgprs: 43
; ScratchSize: 0
; MemoryBound: 0
; FloatMode: 240
; IeeeMode: 1
; LDSByteSize: 3072 bytes/workgroup (compile time only)
; SGPRBlocks: 6
; VGPRBlocks: 5
; NumSGPRsForWavesPerEU: 52
; NumVGPRsForWavesPerEU: 43
; AccumOffset: 44
; Occupancy: 8
; WaveLimiterHint : 0
; COMPUTE_PGM_RSRC2:SCRATCH_EN: 0
; COMPUTE_PGM_RSRC2:USER_SGPR: 6
; COMPUTE_PGM_RSRC2:TRAP_HANDLER: 0
; COMPUTE_PGM_RSRC2:TGID_X_EN: 1
; COMPUTE_PGM_RSRC2:TGID_Y_EN: 1
; COMPUTE_PGM_RSRC2:TGID_Z_EN: 1
; COMPUTE_PGM_RSRC2:TIDIG_COMP_CNT: 0
; COMPUTE_PGM_RSRC3_GFX90A:ACCUM_OFFSET: 10
; COMPUTE_PGM_RSRC3_GFX90A:TG_SPLIT: 0
	.section	.text._ZN9rocsparse31csrmmnn_row_split_shared_kernelILj256ELj8EdiidddEEvNS_24const_host_device_scalarIT1_EES3_bbbT3_S4_llPKT2_PKS4_PKT4_PKT5_llPT6_ll16rocsparse_order_21rocsparse_index_base_,"axG",@progbits,_ZN9rocsparse31csrmmnn_row_split_shared_kernelILj256ELj8EdiidddEEvNS_24const_host_device_scalarIT1_EES3_bbbT3_S4_llPKT2_PKS4_PKT4_PKT5_llPT6_ll16rocsparse_order_21rocsparse_index_base_,comdat
	.protected	_ZN9rocsparse31csrmmnn_row_split_shared_kernelILj256ELj8EdiidddEEvNS_24const_host_device_scalarIT1_EES3_bbbT3_S4_llPKT2_PKS4_PKT4_PKT5_llPT6_ll16rocsparse_order_21rocsparse_index_base_ ; -- Begin function _ZN9rocsparse31csrmmnn_row_split_shared_kernelILj256ELj8EdiidddEEvNS_24const_host_device_scalarIT1_EES3_bbbT3_S4_llPKT2_PKS4_PKT4_PKT5_llPT6_ll16rocsparse_order_21rocsparse_index_base_
	.globl	_ZN9rocsparse31csrmmnn_row_split_shared_kernelILj256ELj8EdiidddEEvNS_24const_host_device_scalarIT1_EES3_bbbT3_S4_llPKT2_PKS4_PKT4_PKT5_llPT6_ll16rocsparse_order_21rocsparse_index_base_
	.p2align	8
	.type	_ZN9rocsparse31csrmmnn_row_split_shared_kernelILj256ELj8EdiidddEEvNS_24const_host_device_scalarIT1_EES3_bbbT3_S4_llPKT2_PKS4_PKT4_PKT5_llPT6_ll16rocsparse_order_21rocsparse_index_base_,@function
_ZN9rocsparse31csrmmnn_row_split_shared_kernelILj256ELj8EdiidddEEvNS_24const_host_device_scalarIT1_EES3_bbbT3_S4_llPKT2_PKS4_PKT4_PKT5_llPT6_ll16rocsparse_order_21rocsparse_index_base_: ; @_ZN9rocsparse31csrmmnn_row_split_shared_kernelILj256ELj8EdiidddEEvNS_24const_host_device_scalarIT1_EES3_bbbT3_S4_llPKT2_PKS4_PKT4_PKT5_llPT6_ll16rocsparse_order_21rocsparse_index_base_
; %bb.0:
	s_load_dwordx8 s[24:31], s[4:5], 0x0
	s_waitcnt lgkmcnt(0)
	s_bitcmp1_b32 s28, 0
	s_cselect_b64 s[2:3], -1, 0
	s_xor_b64 s[0:1], s[2:3], -1
	s_and_b64 vcc, exec, s[2:3]
	v_pk_mov_b32 v[6:7], s[24:25], s[24:25] op_sel:[0,1]
	s_cbranch_vccnz .LBB3_2
; %bb.1:
	v_pk_mov_b32 v[2:3], s[24:25], s[24:25] op_sel:[0,1]
	flat_load_dwordx2 v[6:7], v[2:3]
.LBB3_2:
	s_andn2_b64 vcc, exec, s[0:1]
	v_pk_mov_b32 v[2:3], s[26:27], s[26:27] op_sel:[0,1]
	s_cbranch_vccnz .LBB3_4
; %bb.3:
	v_pk_mov_b32 v[2:3], s[26:27], s[26:27] op_sel:[0,1]
	flat_load_dwordx2 v[2:3], v[2:3]
.LBB3_4:
	s_waitcnt vmcnt(0) lgkmcnt(0)
	v_cmp_neq_f64_e32 vcc, 0, v[6:7]
	v_cmp_neq_f64_e64 s[0:1], 1.0, v[2:3]
	s_or_b64 s[0:1], vcc, s[0:1]
	s_and_saveexec_b64 s[2:3], s[0:1]
	s_cbranch_execz .LBB3_25
; %bb.5:
	v_lshl_or_b32 v1, s6, 8, v0
	v_lshrrev_b32_e32 v12, 3, v1
	v_cmp_gt_i32_e32 vcc, s29, v12
	s_and_b64 exec, exec, vcc
	s_cbranch_execz .LBB3_25
; %bb.6:
	s_load_dwordx16 s[12:27], s[4:5], 0x20
	s_ashr_i32 s9, s8, 31
	v_lshlrev_b32_e32 v1, 2, v12
	s_load_dwordx2 s[10:11], s[4:5], 0x78
	v_and_b32_e32 v13, 7, v0
	s_waitcnt lgkmcnt(0)
	s_mul_i32 s1, s8, s13
	s_mul_hi_u32 s2, s8, s12
	s_mul_i32 s3, s9, s12
	s_add_i32 s1, s2, s1
	s_mul_i32 s0, s8, s12
	s_add_i32 s1, s1, s3
	s_lshl_b64 s[0:1], s[0:1], 2
	s_add_u32 s0, s16, s0
	s_addc_u32 s1, s17, s1
	global_load_dwordx2 v[10:11], v1, s[0:1]
	v_lshl_or_b32 v4, s7, 3, v13
	v_ashrrev_i32_e32 v5, 31, v4
	v_pk_mov_b32 v[8:9], 0, 0
	s_waitcnt vmcnt(0)
	v_cmp_lt_i32_e32 vcc, v10, v11
	s_and_saveexec_b64 s[2:3], vcc
	s_cbranch_execz .LBB3_14
; %bb.7:
	v_lshrrev_b32_e32 v8, 3, v0
	v_mad_u64_u32 v[0:1], s[0:1], v4, s24, 0
	s_mul_i32 s0, s8, s15
	s_mul_hi_u32 s1, s8, s14
	s_add_i32 s0, s1, s0
	s_mul_i32 s1, s9, s14
	s_add_i32 s15, s0, s1
	s_mul_i32 s0, s8, s27
	s_mul_hi_u32 s1, s8, s26
	s_add_i32 s0, s1, s0
	s_mul_i32 s1, s9, s26
	s_add_i32 s1, s0, s1
	s_mul_i32 s0, s8, s26
	v_subrev_u32_e32 v15, s11, v10
	v_mul_lo_u32 v9, v5, s24
	v_mul_lo_u32 v10, v4, s25
	s_lshl_b64 s[0:1], s[0:1], 3
	v_add3_u32 v1, v1, v10, v9
	s_add_u32 s0, s0, s22
	v_mov_b32_e32 v9, 0x800
	v_lshlrev_b64 v[0:1], 3, v[0:1]
	s_addc_u32 s1, s1, s23
	v_lshl_or_b32 v16, v8, 5, v9
	v_lshlrev_b32_e32 v18, 6, v8
	v_mov_b32_e32 v8, s1
	v_add_co_u32_e64 v20, s[0:1], s0, v0
	v_addc_co_u32_e64 v21, s[0:1], v8, v1, s[0:1]
	v_pk_mov_b32 v[0:1], 0, 0
	v_subrev_u32_e32 v14, s11, v11
	v_lshl_or_b32 v17, v13, 2, v16
	v_lshl_or_b32 v19, v13, 3, v18
	s_mul_i32 s14, s8, s14
	v_cmp_gt_i32_e32 vcc, s30, v4
	s_mov_b64 s[6:7], 0
	v_pk_mov_b32 v[8:9], v[0:1], v[0:1] op_sel:[0,1]
	s_branch .LBB3_9
.LBB3_8:                                ;   in Loop: Header=BB3_9 Depth=1
	s_or_b64 exec, exec, s[12:13]
	v_add_u32_e32 v15, 8, v15
	v_cmp_ge_i32_e64 s[0:1], v15, v14
	s_or_b64 s[6:7], s[0:1], s[6:7]
	s_andn2_b64 exec, exec, s[6:7]
	s_cbranch_execz .LBB3_13
.LBB3_9:                                ; =>This Inner Loop Header: Depth=1
	v_add_u32_e32 v22, v13, v15
	v_cmp_lt_i32_e64 s[0:1], v22, v14
	v_mov_b32_e32 v23, 0
	v_pk_mov_b32 v[10:11], v[0:1], v[0:1] op_sel:[0,1]
	s_barrier
	s_and_saveexec_b64 s[12:13], s[0:1]
	s_cbranch_execz .LBB3_11
; %bb.10:                               ;   in Loop: Header=BB3_9 Depth=1
	v_ashrrev_i32_e32 v11, 31, v22
	v_mov_b32_e32 v23, s15
	v_add_co_u32_e64 v10, s[0:1], s14, v22
	v_addc_co_u32_e64 v11, s[0:1], v23, v11, s[0:1]
	v_lshlrev_b64 v[22:23], 2, v[10:11]
	v_mov_b32_e32 v24, s19
	v_add_co_u32_e64 v22, s[0:1], s18, v22
	v_addc_co_u32_e64 v23, s[0:1], v24, v23, s[0:1]
	v_lshlrev_b64 v[10:11], 3, v[10:11]
	global_load_dword v22, v[22:23], off
	v_mov_b32_e32 v23, s21
	v_add_co_u32_e64 v10, s[0:1], s20, v10
	v_addc_co_u32_e64 v11, s[0:1], v23, v11, s[0:1]
	global_load_dwordx2 v[10:11], v[10:11], off
	s_waitcnt vmcnt(1)
	v_subrev_u32_e32 v23, s11, v22
.LBB3_11:                               ;   in Loop: Header=BB3_9 Depth=1
	s_or_b64 exec, exec, s[12:13]
	ds_write_b32 v17, v23
	s_waitcnt vmcnt(0)
	ds_write_b64 v19, v[10:11]
	s_waitcnt lgkmcnt(0)
	s_barrier
	s_and_saveexec_b64 s[12:13], vcc
	s_cbranch_execz .LBB3_8
; %bb.12:                               ;   in Loop: Header=BB3_9 Depth=1
	ds_read_b128 v[22:25], v16
	ds_read_b128 v[26:29], v16 offset:16
	s_waitcnt lgkmcnt(1)
	v_ashrrev_i32_e32 v11, 31, v22
	v_mov_b32_e32 v10, v22
	v_lshlrev_b64 v[10:11], 3, v[10:11]
	v_add_co_u32_e64 v10, s[0:1], v20, v10
	v_ashrrev_i32_e32 v31, 31, v23
	v_mov_b32_e32 v30, v23
	v_addc_co_u32_e64 v11, s[0:1], v21, v11, s[0:1]
	v_lshlrev_b64 v[22:23], 3, v[30:31]
	v_add_co_u32_e64 v22, s[0:1], v20, v22
	v_ashrrev_i32_e32 v31, 31, v24
	v_mov_b32_e32 v30, v24
	v_addc_co_u32_e64 v23, s[0:1], v21, v23, s[0:1]
	;; [unrolled: 5-line block ×3, first 2 shown]
	v_lshlrev_b64 v[24:25], 3, v[32:33]
	v_add_co_u32_e64 v24, s[0:1], v20, v24
	v_addc_co_u32_e64 v25, s[0:1], v21, v25, s[0:1]
	global_load_dwordx2 v[38:39], v[10:11], off
	global_load_dwordx2 v[40:41], v[22:23], off
	;; [unrolled: 1-line block ×4, first 2 shown]
	s_waitcnt lgkmcnt(0)
	v_ashrrev_i32_e32 v11, 31, v26
	v_mov_b32_e32 v10, v26
	v_lshlrev_b64 v[10:11], 3, v[10:11]
	v_add_co_u32_e64 v10, s[0:1], v20, v10
	v_ashrrev_i32_e32 v23, 31, v27
	v_mov_b32_e32 v22, v27
	v_addc_co_u32_e64 v11, s[0:1], v21, v11, s[0:1]
	v_lshlrev_b64 v[22:23], 3, v[22:23]
	v_add_co_u32_e64 v22, s[0:1], v20, v22
	v_ashrrev_i32_e32 v25, 31, v28
	v_mov_b32_e32 v24, v28
	v_addc_co_u32_e64 v23, s[0:1], v21, v23, s[0:1]
	v_lshlrev_b64 v[24:25], 3, v[24:25]
	v_add_co_u32_e64 v24, s[0:1], v20, v24
	v_ashrrev_i32_e32 v27, 31, v29
	v_mov_b32_e32 v26, v29
	v_addc_co_u32_e64 v25, s[0:1], v21, v25, s[0:1]
	v_lshlrev_b64 v[26:27], 3, v[26:27]
	v_add_co_u32_e64 v26, s[0:1], v20, v26
	v_addc_co_u32_e64 v27, s[0:1], v21, v27, s[0:1]
	global_load_dwordx2 v[46:47], v[10:11], off
	global_load_dwordx2 v[48:49], v[22:23], off
	;; [unrolled: 1-line block ×4, first 2 shown]
	ds_read_b128 v[22:25], v18
	ds_read_b128 v[26:29], v18 offset:16
	ds_read_b128 v[30:33], v18 offset:32
	;; [unrolled: 1-line block ×3, first 2 shown]
	s_waitcnt vmcnt(7) lgkmcnt(3)
	v_fmac_f64_e32 v[8:9], v[22:23], v[38:39]
	s_waitcnt vmcnt(6)
	v_fmac_f64_e32 v[8:9], v[24:25], v[40:41]
	s_waitcnt vmcnt(5) lgkmcnt(2)
	v_fmac_f64_e32 v[8:9], v[26:27], v[42:43]
	s_waitcnt vmcnt(4)
	v_fmac_f64_e32 v[8:9], v[28:29], v[44:45]
	;; [unrolled: 4-line block ×4, first 2 shown]
	s_branch .LBB3_8
.LBB3_13:
	s_or_b64 exec, exec, s[6:7]
.LBB3_14:
	s_or_b64 exec, exec, s[2:3]
	v_cmp_gt_i32_e32 vcc, s30, v4
	s_and_b64 exec, exec, vcc
	s_cbranch_execz .LBB3_25
; %bb.15:
	s_load_dwordx4 s[0:3], s[4:5], 0x60
	s_load_dwordx2 s[16:17], s[4:5], 0x70
	s_cmp_lg_u32 s10, 1
	v_cmp_neq_f64_e32 vcc, 0, v[2:3]
	s_cselect_b64 s[6:7], -1, 0
	v_mul_f64 v[0:1], v[6:7], v[8:9]
	s_waitcnt lgkmcnt(0)
	s_mul_i32 s12, s8, s17
	s_mul_hi_u32 s13, s8, s16
	s_mul_i32 s14, s9, s16
	s_mul_i32 s4, s8, s16
	s_and_saveexec_b64 s[8:9], vcc
	s_xor_b64 s[8:9], exec, s[8:9]
	s_cbranch_execz .LBB3_20
; %bb.16:
	s_add_i32 s5, s13, s12
	s_add_i32 s5, s5, s14
	s_mov_b64 s[10:11], -1
	s_and_b64 vcc, exec, s[6:7]
	s_cbranch_vccz .LBB3_18
; %bb.17:
	v_mad_u64_u32 v[6:7], s[10:11], v12, s2, 0
	v_mov_b32_e32 v8, v7
	v_mad_u64_u32 v[8:9], s[10:11], v12, s3, v[8:9]
	v_mov_b32_e32 v7, v8
	v_lshlrev_b64 v[6:7], 3, v[6:7]
	v_mov_b32_e32 v8, s1
	v_add_co_u32_e32 v9, vcc, s0, v6
	v_addc_co_u32_e32 v8, vcc, v8, v7, vcc
	v_lshlrev_b64 v[6:7], 3, v[4:5]
	v_add_co_u32_e32 v6, vcc, v9, v6
	v_addc_co_u32_e32 v7, vcc, v8, v7, vcc
	s_lshl_b64 s[10:11], s[4:5], 3
	v_mov_b32_e32 v8, s11
	v_add_co_u32_e32 v6, vcc, s10, v6
	v_addc_co_u32_e32 v7, vcc, v7, v8, vcc
	global_load_dwordx2 v[8:9], v[6:7], off
	s_mov_b64 s[10:11], 0
	s_waitcnt vmcnt(0)
	v_fma_f64 v[8:9], v[2:3], v[8:9], v[0:1]
	global_store_dwordx2 v[6:7], v[8:9], off
.LBB3_18:
	s_andn2_b64 vcc, exec, s[10:11]
	s_cbranch_vccnz .LBB3_20
; %bb.19:
	v_mul_lo_u32 v6, v5, s2
	v_mul_lo_u32 v7, v4, s3
	v_mad_u64_u32 v[4:5], s[10:11], v4, s2, 0
	v_add3_u32 v5, v5, v7, v6
	v_lshlrev_b64 v[4:5], 3, v[4:5]
	v_mov_b32_e32 v6, s1
	v_add_co_u32_e32 v4, vcc, s0, v4
	v_addc_co_u32_e32 v5, vcc, v6, v5, vcc
	v_lshlrev_b32_e32 v6, 3, v12
	v_add_co_u32_e32 v4, vcc, v4, v6
	v_addc_co_u32_e32 v5, vcc, 0, v5, vcc
	s_lshl_b64 s[10:11], s[4:5], 3
	v_mov_b32_e32 v6, s11
	v_add_co_u32_e32 v4, vcc, s10, v4
	v_addc_co_u32_e32 v5, vcc, v5, v6, vcc
	global_load_dwordx2 v[6:7], v[4:5], off
                                        ; implicit-def: $vgpr12
	s_waitcnt vmcnt(0)
	v_fmac_f64_e32 v[0:1], v[2:3], v[6:7]
	global_store_dwordx2 v[4:5], v[0:1], off
                                        ; implicit-def: $vgpr4_vgpr5
                                        ; implicit-def: $vgpr0_vgpr1
.LBB3_20:
	s_andn2_saveexec_b64 s[8:9], s[8:9]
	s_cbranch_execz .LBB3_25
; %bb.21:
	s_add_i32 s5, s13, s12
	s_add_i32 s5, s5, s14
	s_mov_b64 s[8:9], -1
	s_and_b64 vcc, exec, s[6:7]
	s_cbranch_vccz .LBB3_23
; %bb.22:
	v_mad_u64_u32 v[2:3], s[6:7], v12, s2, 0
	v_mov_b32_e32 v6, v3
	v_mad_u64_u32 v[6:7], s[6:7], v12, s3, v[6:7]
	v_mov_b32_e32 v3, v6
	v_lshlrev_b64 v[2:3], 3, v[2:3]
	v_mov_b32_e32 v6, s1
	v_add_co_u32_e32 v7, vcc, s0, v2
	v_addc_co_u32_e32 v6, vcc, v6, v3, vcc
	v_lshlrev_b64 v[2:3], 3, v[4:5]
	v_add_co_u32_e32 v2, vcc, v7, v2
	v_addc_co_u32_e32 v3, vcc, v6, v3, vcc
	s_lshl_b64 s[6:7], s[4:5], 3
	v_mov_b32_e32 v6, s7
	v_add_co_u32_e32 v2, vcc, s6, v2
	v_addc_co_u32_e32 v3, vcc, v3, v6, vcc
	global_store_dwordx2 v[2:3], v[0:1], off
	s_mov_b64 s[8:9], 0
.LBB3_23:
	s_andn2_b64 vcc, exec, s[8:9]
	s_cbranch_vccnz .LBB3_25
; %bb.24:
	v_mul_lo_u32 v5, v5, s2
	v_mul_lo_u32 v6, v4, s3
	v_mad_u64_u32 v[2:3], s[2:3], v4, s2, 0
	v_add3_u32 v3, v3, v6, v5
	v_lshlrev_b64 v[2:3], 3, v[2:3]
	v_mov_b32_e32 v4, s1
	v_add_co_u32_e32 v2, vcc, s0, v2
	v_addc_co_u32_e32 v3, vcc, v4, v3, vcc
	v_lshlrev_b32_e32 v4, 3, v12
	v_add_co_u32_e32 v2, vcc, v2, v4
	v_addc_co_u32_e32 v3, vcc, 0, v3, vcc
	s_lshl_b64 s[0:1], s[4:5], 3
	v_mov_b32_e32 v4, s1
	v_add_co_u32_e32 v2, vcc, s0, v2
	v_addc_co_u32_e32 v3, vcc, v3, v4, vcc
	global_store_dwordx2 v[2:3], v[0:1], off
.LBB3_25:
	s_endpgm
	.section	.rodata,"a",@progbits
	.p2align	6, 0x0
	.amdhsa_kernel _ZN9rocsparse31csrmmnn_row_split_shared_kernelILj256ELj8EdiidddEEvNS_24const_host_device_scalarIT1_EES3_bbbT3_S4_llPKT2_PKS4_PKT4_PKT5_llPT6_ll16rocsparse_order_21rocsparse_index_base_
		.amdhsa_group_segment_fixed_size 3072
		.amdhsa_private_segment_fixed_size 0
		.amdhsa_kernarg_size 128
		.amdhsa_user_sgpr_count 6
		.amdhsa_user_sgpr_private_segment_buffer 1
		.amdhsa_user_sgpr_dispatch_ptr 0
		.amdhsa_user_sgpr_queue_ptr 0
		.amdhsa_user_sgpr_kernarg_segment_ptr 1
		.amdhsa_user_sgpr_dispatch_id 0
		.amdhsa_user_sgpr_flat_scratch_init 0
		.amdhsa_user_sgpr_kernarg_preload_length 0
		.amdhsa_user_sgpr_kernarg_preload_offset 0
		.amdhsa_user_sgpr_private_segment_size 0
		.amdhsa_uses_dynamic_stack 0
		.amdhsa_system_sgpr_private_segment_wavefront_offset 0
		.amdhsa_system_sgpr_workgroup_id_x 1
		.amdhsa_system_sgpr_workgroup_id_y 1
		.amdhsa_system_sgpr_workgroup_id_z 1
		.amdhsa_system_sgpr_workgroup_info 0
		.amdhsa_system_vgpr_workitem_id 0
		.amdhsa_next_free_vgpr 54
		.amdhsa_next_free_sgpr 32
		.amdhsa_accum_offset 56
		.amdhsa_reserve_vcc 1
		.amdhsa_reserve_flat_scratch 0
		.amdhsa_float_round_mode_32 0
		.amdhsa_float_round_mode_16_64 0
		.amdhsa_float_denorm_mode_32 3
		.amdhsa_float_denorm_mode_16_64 3
		.amdhsa_dx10_clamp 1
		.amdhsa_ieee_mode 1
		.amdhsa_fp16_overflow 0
		.amdhsa_tg_split 0
		.amdhsa_exception_fp_ieee_invalid_op 0
		.amdhsa_exception_fp_denorm_src 0
		.amdhsa_exception_fp_ieee_div_zero 0
		.amdhsa_exception_fp_ieee_overflow 0
		.amdhsa_exception_fp_ieee_underflow 0
		.amdhsa_exception_fp_ieee_inexact 0
		.amdhsa_exception_int_div_zero 0
	.end_amdhsa_kernel
	.section	.text._ZN9rocsparse31csrmmnn_row_split_shared_kernelILj256ELj8EdiidddEEvNS_24const_host_device_scalarIT1_EES3_bbbT3_S4_llPKT2_PKS4_PKT4_PKT5_llPT6_ll16rocsparse_order_21rocsparse_index_base_,"axG",@progbits,_ZN9rocsparse31csrmmnn_row_split_shared_kernelILj256ELj8EdiidddEEvNS_24const_host_device_scalarIT1_EES3_bbbT3_S4_llPKT2_PKS4_PKT4_PKT5_llPT6_ll16rocsparse_order_21rocsparse_index_base_,comdat
.Lfunc_end3:
	.size	_ZN9rocsparse31csrmmnn_row_split_shared_kernelILj256ELj8EdiidddEEvNS_24const_host_device_scalarIT1_EES3_bbbT3_S4_llPKT2_PKS4_PKT4_PKT5_llPT6_ll16rocsparse_order_21rocsparse_index_base_, .Lfunc_end3-_ZN9rocsparse31csrmmnn_row_split_shared_kernelILj256ELj8EdiidddEEvNS_24const_host_device_scalarIT1_EES3_bbbT3_S4_llPKT2_PKS4_PKT4_PKT5_llPT6_ll16rocsparse_order_21rocsparse_index_base_
                                        ; -- End function
	.section	.AMDGPU.csdata,"",@progbits
; Kernel info:
; codeLenInByte = 1644
; NumSgprs: 36
; NumVgprs: 54
; NumAgprs: 0
; TotalNumVgprs: 54
; ScratchSize: 0
; MemoryBound: 0
; FloatMode: 240
; IeeeMode: 1
; LDSByteSize: 3072 bytes/workgroup (compile time only)
; SGPRBlocks: 4
; VGPRBlocks: 6
; NumSGPRsForWavesPerEU: 36
; NumVGPRsForWavesPerEU: 54
; AccumOffset: 56
; Occupancy: 8
; WaveLimiterHint : 1
; COMPUTE_PGM_RSRC2:SCRATCH_EN: 0
; COMPUTE_PGM_RSRC2:USER_SGPR: 6
; COMPUTE_PGM_RSRC2:TRAP_HANDLER: 0
; COMPUTE_PGM_RSRC2:TGID_X_EN: 1
; COMPUTE_PGM_RSRC2:TGID_Y_EN: 1
; COMPUTE_PGM_RSRC2:TGID_Z_EN: 1
; COMPUTE_PGM_RSRC2:TIDIG_COMP_CNT: 0
; COMPUTE_PGM_RSRC3_GFX90A:ACCUM_OFFSET: 13
; COMPUTE_PGM_RSRC3_GFX90A:TG_SPLIT: 0
	.section	.text._ZN9rocsparse31csrmmnn_row_split_shared_kernelILj256ELj8EdlidddEEvNS_24const_host_device_scalarIT1_EES3_bbbT3_S4_llPKT2_PKS4_PKT4_PKT5_llPT6_ll16rocsparse_order_21rocsparse_index_base_,"axG",@progbits,_ZN9rocsparse31csrmmnn_row_split_shared_kernelILj256ELj8EdlidddEEvNS_24const_host_device_scalarIT1_EES3_bbbT3_S4_llPKT2_PKS4_PKT4_PKT5_llPT6_ll16rocsparse_order_21rocsparse_index_base_,comdat
	.protected	_ZN9rocsparse31csrmmnn_row_split_shared_kernelILj256ELj8EdlidddEEvNS_24const_host_device_scalarIT1_EES3_bbbT3_S4_llPKT2_PKS4_PKT4_PKT5_llPT6_ll16rocsparse_order_21rocsparse_index_base_ ; -- Begin function _ZN9rocsparse31csrmmnn_row_split_shared_kernelILj256ELj8EdlidddEEvNS_24const_host_device_scalarIT1_EES3_bbbT3_S4_llPKT2_PKS4_PKT4_PKT5_llPT6_ll16rocsparse_order_21rocsparse_index_base_
	.globl	_ZN9rocsparse31csrmmnn_row_split_shared_kernelILj256ELj8EdlidddEEvNS_24const_host_device_scalarIT1_EES3_bbbT3_S4_llPKT2_PKS4_PKT4_PKT5_llPT6_ll16rocsparse_order_21rocsparse_index_base_
	.p2align	8
	.type	_ZN9rocsparse31csrmmnn_row_split_shared_kernelILj256ELj8EdlidddEEvNS_24const_host_device_scalarIT1_EES3_bbbT3_S4_llPKT2_PKS4_PKT4_PKT5_llPT6_ll16rocsparse_order_21rocsparse_index_base_,@function
_ZN9rocsparse31csrmmnn_row_split_shared_kernelILj256ELj8EdlidddEEvNS_24const_host_device_scalarIT1_EES3_bbbT3_S4_llPKT2_PKS4_PKT4_PKT5_llPT6_ll16rocsparse_order_21rocsparse_index_base_: ; @_ZN9rocsparse31csrmmnn_row_split_shared_kernelILj256ELj8EdlidddEEvNS_24const_host_device_scalarIT1_EES3_bbbT3_S4_llPKT2_PKS4_PKT4_PKT5_llPT6_ll16rocsparse_order_21rocsparse_index_base_
; %bb.0:
	s_load_dwordx8 s[24:31], s[4:5], 0x0
	s_waitcnt lgkmcnt(0)
	s_bitcmp1_b32 s28, 0
	s_cselect_b64 s[2:3], -1, 0
	s_xor_b64 s[0:1], s[2:3], -1
	s_and_b64 vcc, exec, s[2:3]
	v_pk_mov_b32 v[10:11], s[24:25], s[24:25] op_sel:[0,1]
	s_cbranch_vccnz .LBB4_2
; %bb.1:
	v_pk_mov_b32 v[2:3], s[24:25], s[24:25] op_sel:[0,1]
	flat_load_dwordx2 v[10:11], v[2:3]
.LBB4_2:
	s_andn2_b64 vcc, exec, s[0:1]
	v_pk_mov_b32 v[6:7], s[26:27], s[26:27] op_sel:[0,1]
	s_cbranch_vccnz .LBB4_4
; %bb.3:
	v_pk_mov_b32 v[2:3], s[26:27], s[26:27] op_sel:[0,1]
	flat_load_dwordx2 v[6:7], v[2:3]
.LBB4_4:
	s_waitcnt vmcnt(0) lgkmcnt(0)
	v_cmp_neq_f64_e32 vcc, 0, v[10:11]
	v_cmp_neq_f64_e64 s[0:1], 1.0, v[6:7]
	s_or_b64 s[0:1], vcc, s[0:1]
	s_and_saveexec_b64 s[2:3], s[0:1]
	s_cbranch_execz .LBB4_25
; %bb.5:
	v_lshl_or_b32 v1, s6, 8, v0
	v_lshrrev_b32_e32 v22, 3, v1
	v_cmp_gt_i32_e32 vcc, s29, v22
	s_and_b64 exec, exec, vcc
	s_cbranch_execz .LBB4_25
; %bb.6:
	s_load_dwordx16 s[12:27], s[4:5], 0x20
	s_ashr_i32 s9, s8, 31
	v_lshlrev_b32_e32 v13, 3, v22
	s_load_dwordx2 s[10:11], s[4:5], 0x78
	v_and_b32_e32 v12, 7, v0
	s_waitcnt lgkmcnt(0)
	s_mul_i32 s1, s8, s13
	s_mul_hi_u32 s2, s8, s12
	s_mul_i32 s3, s9, s12
	s_add_i32 s1, s2, s1
	s_mul_i32 s0, s8, s12
	s_add_i32 s1, s1, s3
	s_lshl_b64 s[0:1], s[0:1], 3
	s_add_u32 s0, s16, s0
	s_addc_u32 s1, s17, s1
	global_load_dwordx4 v[2:5], v13, s[0:1]
	v_lshl_or_b32 v8, s7, 3, v12
	v_ashrrev_i32_e32 v9, 31, v8
	v_pk_mov_b32 v[14:15], 0, 0
	s_waitcnt vmcnt(0)
	v_cmp_lt_i64_e32 vcc, v[2:3], v[4:5]
	s_and_saveexec_b64 s[2:3], vcc
	s_cbranch_execz .LBB4_14
; %bb.7:
	v_mad_u64_u32 v[14:15], s[0:1], v8, s24, 0
	s_mul_i32 s0, s8, s27
	s_mul_hi_u32 s1, s8, s26
	s_add_i32 s0, s1, s0
	s_mul_i32 s1, s9, s26
	s_add_i32 s1, s0, s1
	s_mul_i32 s0, s8, s26
	v_mul_lo_u32 v17, v9, s24
	v_mul_lo_u32 v18, v8, s25
	s_lshl_b64 s[0:1], s[0:1], 3
	v_add3_u32 v15, v15, v18, v17
	s_add_u32 s0, s0, s22
	s_mov_b32 s6, s11
	v_lshrrev_b32_e32 v16, 3, v0
	v_mov_b32_e32 v17, 0x800
	v_lshlrev_b64 v[14:15], 3, v[14:15]
	s_addc_u32 s1, s1, s23
	v_subrev_co_u32_e32 v4, vcc, s6, v4
	v_lshl_or_b32 v23, v16, 5, v17
	v_lshlrev_b32_e32 v25, 6, v16
	v_mov_b32_e32 v16, s1
	v_add_co_u32_e64 v27, s[0:1], s0, v14
	v_subbrev_co_u32_e32 v5, vcc, 0, v5, vcc
	v_addc_co_u32_e64 v28, s[0:1], v16, v15, s[0:1]
	v_subrev_co_u32_e32 v0, vcc, s6, v2
	s_mul_i32 s0, s9, s14
	s_mul_i32 s1, s8, s15
	v_mov_b32_e32 v14, s14
	v_subbrev_co_u32_e32 v1, vcc, 0, v3, vcc
	s_add_i32 s7, s1, s0
	v_mad_u64_u32 v[2:3], s[0:1], s8, v14, v[2:3]
	v_add_u32_e32 v3, s7, v3
	v_add_co_u32_e64 v2, s[0:1], v2, v12
	v_addc_co_u32_e64 v3, s[0:1], 0, v3, s[0:1]
	v_subrev_co_u32_e64 v14, s[0:1], s6, v2
	v_subbrev_co_u32_e64 v15, s[0:1], 0, v3, s[0:1]
	v_lshlrev_b64 v[2:3], 2, v[14:15]
	v_mov_b32_e32 v16, s19
	v_add_co_u32_e64 v2, s[0:1], s18, v2
	v_addc_co_u32_e64 v3, s[0:1], v16, v3, s[0:1]
	v_lshlrev_b64 v[14:15], 3, v[14:15]
	v_mov_b32_e32 v17, s21
	v_add_co_u32_e64 v16, s[0:1], s20, v14
	v_pk_mov_b32 v[18:19], 0, 0
	v_lshl_or_b32 v24, v12, 2, v23
	v_lshl_or_b32 v26, v12, 3, v25
	v_cmp_gt_i32_e32 vcc, s30, v8
	v_addc_co_u32_e64 v17, s[0:1], v17, v15, s[0:1]
	s_mov_b64 s[6:7], 0
	v_pk_mov_b32 v[14:15], v[18:19], v[18:19] op_sel:[0,1]
	s_branch .LBB4_9
.LBB4_8:                                ;   in Loop: Header=BB4_9 Depth=1
	s_or_b64 exec, exec, s[12:13]
	v_add_co_u32_e64 v0, s[0:1], 8, v0
	v_addc_co_u32_e64 v1, s[0:1], 0, v1, s[0:1]
	v_add_co_u32_e64 v2, s[0:1], 32, v2
	v_addc_co_u32_e64 v3, s[0:1], 0, v3, s[0:1]
	v_cmp_ge_i64_e64 s[0:1], v[0:1], v[4:5]
	s_or_b64 s[6:7], s[0:1], s[6:7]
	v_add_co_u32_e64 v16, s[0:1], 64, v16
	v_addc_co_u32_e64 v17, s[0:1], 0, v17, s[0:1]
	s_andn2_b64 exec, exec, s[6:7]
	s_cbranch_execz .LBB4_13
.LBB4_9:                                ; =>This Inner Loop Header: Depth=1
	v_add_co_u32_e64 v20, s[0:1], v12, v0
	v_addc_co_u32_e64 v21, s[0:1], 0, v1, s[0:1]
	v_cmp_lt_i64_e64 s[0:1], v[20:21], v[4:5]
	v_mov_b32_e32 v29, 0
	v_pk_mov_b32 v[20:21], v[18:19], v[18:19] op_sel:[0,1]
	s_barrier
	s_and_saveexec_b64 s[12:13], s[0:1]
	s_cbranch_execz .LBB4_11
; %bb.10:                               ;   in Loop: Header=BB4_9 Depth=1
	global_load_dword v29, v[2:3], off
	global_load_dwordx2 v[20:21], v[16:17], off
	s_waitcnt vmcnt(1)
	v_subrev_u32_e32 v29, s11, v29
.LBB4_11:                               ;   in Loop: Header=BB4_9 Depth=1
	s_or_b64 exec, exec, s[12:13]
	ds_write_b32 v24, v29
	s_waitcnt vmcnt(0)
	ds_write_b64 v26, v[20:21]
	s_waitcnt lgkmcnt(0)
	s_barrier
	s_and_saveexec_b64 s[12:13], vcc
	s_cbranch_execz .LBB4_8
; %bb.12:                               ;   in Loop: Header=BB4_9 Depth=1
	ds_read_b128 v[30:33], v23
	ds_read_b128 v[34:37], v23 offset:16
	s_waitcnt lgkmcnt(1)
	v_ashrrev_i32_e32 v21, 31, v30
	v_mov_b32_e32 v20, v30
	v_lshlrev_b64 v[20:21], 3, v[20:21]
	v_add_co_u32_e64 v20, s[0:1], v27, v20
	v_ashrrev_i32_e32 v39, 31, v31
	v_mov_b32_e32 v38, v31
	v_addc_co_u32_e64 v21, s[0:1], v28, v21, s[0:1]
	v_lshlrev_b64 v[30:31], 3, v[38:39]
	v_add_co_u32_e64 v30, s[0:1], v27, v30
	v_ashrrev_i32_e32 v39, 31, v32
	v_mov_b32_e32 v38, v32
	v_addc_co_u32_e64 v31, s[0:1], v28, v31, s[0:1]
	;; [unrolled: 5-line block ×3, first 2 shown]
	v_lshlrev_b64 v[32:33], 3, v[40:41]
	v_add_co_u32_e64 v32, s[0:1], v27, v32
	v_addc_co_u32_e64 v33, s[0:1], v28, v33, s[0:1]
	global_load_dwordx2 v[46:47], v[20:21], off
	global_load_dwordx2 v[48:49], v[30:31], off
	;; [unrolled: 1-line block ×4, first 2 shown]
	s_waitcnt lgkmcnt(0)
	v_ashrrev_i32_e32 v21, 31, v34
	v_mov_b32_e32 v20, v34
	v_lshlrev_b64 v[20:21], 3, v[20:21]
	v_add_co_u32_e64 v20, s[0:1], v27, v20
	v_ashrrev_i32_e32 v31, 31, v35
	v_mov_b32_e32 v30, v35
	v_addc_co_u32_e64 v21, s[0:1], v28, v21, s[0:1]
	v_lshlrev_b64 v[30:31], 3, v[30:31]
	v_add_co_u32_e64 v30, s[0:1], v27, v30
	v_ashrrev_i32_e32 v33, 31, v36
	v_mov_b32_e32 v32, v36
	v_addc_co_u32_e64 v31, s[0:1], v28, v31, s[0:1]
	;; [unrolled: 5-line block ×3, first 2 shown]
	v_lshlrev_b64 v[34:35], 3, v[34:35]
	v_add_co_u32_e64 v34, s[0:1], v27, v34
	v_addc_co_u32_e64 v35, s[0:1], v28, v35, s[0:1]
	global_load_dwordx2 v[54:55], v[20:21], off
	global_load_dwordx2 v[56:57], v[30:31], off
	;; [unrolled: 1-line block ×4, first 2 shown]
	ds_read_b128 v[30:33], v25
	ds_read_b128 v[34:37], v25 offset:16
	ds_read_b128 v[38:41], v25 offset:32
	;; [unrolled: 1-line block ×3, first 2 shown]
	s_waitcnt vmcnt(7) lgkmcnt(3)
	v_fmac_f64_e32 v[14:15], v[30:31], v[46:47]
	s_waitcnt vmcnt(6)
	v_fmac_f64_e32 v[14:15], v[32:33], v[48:49]
	s_waitcnt vmcnt(5) lgkmcnt(2)
	v_fmac_f64_e32 v[14:15], v[34:35], v[50:51]
	s_waitcnt vmcnt(4)
	v_fmac_f64_e32 v[14:15], v[36:37], v[52:53]
	;; [unrolled: 4-line block ×4, first 2 shown]
	s_branch .LBB4_8
.LBB4_13:
	s_or_b64 exec, exec, s[6:7]
.LBB4_14:
	s_or_b64 exec, exec, s[2:3]
	v_cmp_gt_i32_e32 vcc, s30, v8
	s_and_b64 exec, exec, vcc
	s_cbranch_execz .LBB4_25
; %bb.15:
	s_load_dwordx4 s[0:3], s[4:5], 0x60
	s_load_dwordx2 s[16:17], s[4:5], 0x70
	s_cmp_lg_u32 s10, 1
	v_cmp_neq_f64_e32 vcc, 0, v[6:7]
	s_cselect_b64 s[6:7], -1, 0
	v_mul_f64 v[0:1], v[10:11], v[14:15]
	s_waitcnt lgkmcnt(0)
	s_mul_i32 s12, s8, s17
	s_mul_hi_u32 s13, s8, s16
	s_mul_i32 s14, s9, s16
	s_mul_i32 s4, s8, s16
	s_and_saveexec_b64 s[8:9], vcc
	s_xor_b64 s[8:9], exec, s[8:9]
	s_cbranch_execz .LBB4_20
; %bb.16:
	s_add_i32 s5, s13, s12
	s_add_i32 s5, s5, s14
	s_mov_b64 s[10:11], -1
	s_and_b64 vcc, exec, s[6:7]
	s_cbranch_vccz .LBB4_18
; %bb.17:
	v_mad_u64_u32 v[2:3], s[10:11], v22, s2, 0
	v_mov_b32_e32 v4, v3
	v_mad_u64_u32 v[4:5], s[10:11], v22, s3, v[4:5]
	v_mov_b32_e32 v3, v4
	v_lshlrev_b64 v[2:3], 3, v[2:3]
	v_mov_b32_e32 v4, s1
	v_add_co_u32_e32 v5, vcc, s0, v2
	v_addc_co_u32_e32 v4, vcc, v4, v3, vcc
	v_lshlrev_b64 v[2:3], 3, v[8:9]
	v_add_co_u32_e32 v2, vcc, v5, v2
	v_addc_co_u32_e32 v3, vcc, v4, v3, vcc
	s_lshl_b64 s[10:11], s[4:5], 3
	v_mov_b32_e32 v4, s11
	v_add_co_u32_e32 v2, vcc, s10, v2
	v_addc_co_u32_e32 v3, vcc, v3, v4, vcc
	global_load_dwordx2 v[4:5], v[2:3], off
	s_mov_b64 s[10:11], 0
	s_waitcnt vmcnt(0)
	v_fma_f64 v[4:5], v[6:7], v[4:5], v[0:1]
	global_store_dwordx2 v[2:3], v[4:5], off
.LBB4_18:
	s_andn2_b64 vcc, exec, s[10:11]
                                        ; implicit-def: $vgpr22
	s_cbranch_vccnz .LBB4_20
; %bb.19:
	v_mul_lo_u32 v4, v9, s2
	v_mul_lo_u32 v5, v8, s3
	v_mad_u64_u32 v[2:3], s[10:11], v8, s2, 0
	v_add3_u32 v3, v3, v5, v4
	v_lshlrev_b64 v[2:3], 3, v[2:3]
	v_mov_b32_e32 v4, s1
	v_add_co_u32_e32 v2, vcc, s0, v2
	v_addc_co_u32_e32 v3, vcc, v4, v3, vcc
	v_add_co_u32_e32 v2, vcc, v2, v13
	v_addc_co_u32_e32 v3, vcc, 0, v3, vcc
	s_lshl_b64 s[10:11], s[4:5], 3
	v_mov_b32_e32 v4, s11
	v_add_co_u32_e32 v2, vcc, s10, v2
	v_addc_co_u32_e32 v3, vcc, v3, v4, vcc
	global_load_dwordx2 v[4:5], v[2:3], off
                                        ; implicit-def: $vgpr8_vgpr9
                                        ; implicit-def: $vgpr13
                                        ; implicit-def: $vgpr22
	s_waitcnt vmcnt(0)
	v_fmac_f64_e32 v[0:1], v[6:7], v[4:5]
	global_store_dwordx2 v[2:3], v[0:1], off
                                        ; implicit-def: $vgpr0_vgpr1
.LBB4_20:
	s_andn2_saveexec_b64 s[8:9], s[8:9]
	s_cbranch_execz .LBB4_25
; %bb.21:
	s_add_i32 s5, s13, s12
	s_add_i32 s5, s5, s14
	s_mov_b64 s[8:9], -1
	s_and_b64 vcc, exec, s[6:7]
	s_cbranch_vccz .LBB4_23
; %bb.22:
	v_mad_u64_u32 v[2:3], s[6:7], v22, s2, 0
	v_mov_b32_e32 v4, v3
	v_mad_u64_u32 v[4:5], s[6:7], v22, s3, v[4:5]
	v_mov_b32_e32 v3, v4
	v_lshlrev_b64 v[2:3], 3, v[2:3]
	v_mov_b32_e32 v4, s1
	v_add_co_u32_e32 v5, vcc, s0, v2
	v_addc_co_u32_e32 v4, vcc, v4, v3, vcc
	v_lshlrev_b64 v[2:3], 3, v[8:9]
	v_add_co_u32_e32 v2, vcc, v5, v2
	v_addc_co_u32_e32 v3, vcc, v4, v3, vcc
	s_lshl_b64 s[6:7], s[4:5], 3
	v_mov_b32_e32 v4, s7
	v_add_co_u32_e32 v2, vcc, s6, v2
	v_addc_co_u32_e32 v3, vcc, v3, v4, vcc
	global_store_dwordx2 v[2:3], v[0:1], off
	s_mov_b64 s[8:9], 0
.LBB4_23:
	s_andn2_b64 vcc, exec, s[8:9]
	s_cbranch_vccnz .LBB4_25
; %bb.24:
	v_mul_lo_u32 v4, v9, s2
	v_mul_lo_u32 v5, v8, s3
	v_mad_u64_u32 v[2:3], s[2:3], v8, s2, 0
	v_add3_u32 v3, v3, v5, v4
	v_lshlrev_b64 v[2:3], 3, v[2:3]
	v_mov_b32_e32 v4, s1
	v_add_co_u32_e32 v2, vcc, s0, v2
	v_addc_co_u32_e32 v3, vcc, v4, v3, vcc
	v_add_co_u32_e32 v2, vcc, v2, v13
	v_addc_co_u32_e32 v3, vcc, 0, v3, vcc
	s_lshl_b64 s[0:1], s[4:5], 3
	v_mov_b32_e32 v4, s1
	v_add_co_u32_e32 v2, vcc, s0, v2
	v_addc_co_u32_e32 v3, vcc, v3, v4, vcc
	global_store_dwordx2 v[2:3], v[0:1], off
.LBB4_25:
	s_endpgm
	.section	.rodata,"a",@progbits
	.p2align	6, 0x0
	.amdhsa_kernel _ZN9rocsparse31csrmmnn_row_split_shared_kernelILj256ELj8EdlidddEEvNS_24const_host_device_scalarIT1_EES3_bbbT3_S4_llPKT2_PKS4_PKT4_PKT5_llPT6_ll16rocsparse_order_21rocsparse_index_base_
		.amdhsa_group_segment_fixed_size 3072
		.amdhsa_private_segment_fixed_size 0
		.amdhsa_kernarg_size 128
		.amdhsa_user_sgpr_count 6
		.amdhsa_user_sgpr_private_segment_buffer 1
		.amdhsa_user_sgpr_dispatch_ptr 0
		.amdhsa_user_sgpr_queue_ptr 0
		.amdhsa_user_sgpr_kernarg_segment_ptr 1
		.amdhsa_user_sgpr_dispatch_id 0
		.amdhsa_user_sgpr_flat_scratch_init 0
		.amdhsa_user_sgpr_kernarg_preload_length 0
		.amdhsa_user_sgpr_kernarg_preload_offset 0
		.amdhsa_user_sgpr_private_segment_size 0
		.amdhsa_uses_dynamic_stack 0
		.amdhsa_system_sgpr_private_segment_wavefront_offset 0
		.amdhsa_system_sgpr_workgroup_id_x 1
		.amdhsa_system_sgpr_workgroup_id_y 1
		.amdhsa_system_sgpr_workgroup_id_z 1
		.amdhsa_system_sgpr_workgroup_info 0
		.amdhsa_system_vgpr_workitem_id 0
		.amdhsa_next_free_vgpr 62
		.amdhsa_next_free_sgpr 32
		.amdhsa_accum_offset 64
		.amdhsa_reserve_vcc 1
		.amdhsa_reserve_flat_scratch 0
		.amdhsa_float_round_mode_32 0
		.amdhsa_float_round_mode_16_64 0
		.amdhsa_float_denorm_mode_32 3
		.amdhsa_float_denorm_mode_16_64 3
		.amdhsa_dx10_clamp 1
		.amdhsa_ieee_mode 1
		.amdhsa_fp16_overflow 0
		.amdhsa_tg_split 0
		.amdhsa_exception_fp_ieee_invalid_op 0
		.amdhsa_exception_fp_denorm_src 0
		.amdhsa_exception_fp_ieee_div_zero 0
		.amdhsa_exception_fp_ieee_overflow 0
		.amdhsa_exception_fp_ieee_underflow 0
		.amdhsa_exception_fp_ieee_inexact 0
		.amdhsa_exception_int_div_zero 0
	.end_amdhsa_kernel
	.section	.text._ZN9rocsparse31csrmmnn_row_split_shared_kernelILj256ELj8EdlidddEEvNS_24const_host_device_scalarIT1_EES3_bbbT3_S4_llPKT2_PKS4_PKT4_PKT5_llPT6_ll16rocsparse_order_21rocsparse_index_base_,"axG",@progbits,_ZN9rocsparse31csrmmnn_row_split_shared_kernelILj256ELj8EdlidddEEvNS_24const_host_device_scalarIT1_EES3_bbbT3_S4_llPKT2_PKS4_PKT4_PKT5_llPT6_ll16rocsparse_order_21rocsparse_index_base_,comdat
.Lfunc_end4:
	.size	_ZN9rocsparse31csrmmnn_row_split_shared_kernelILj256ELj8EdlidddEEvNS_24const_host_device_scalarIT1_EES3_bbbT3_S4_llPKT2_PKS4_PKT4_PKT5_llPT6_ll16rocsparse_order_21rocsparse_index_base_, .Lfunc_end4-_ZN9rocsparse31csrmmnn_row_split_shared_kernelILj256ELj8EdlidddEEvNS_24const_host_device_scalarIT1_EES3_bbbT3_S4_llPKT2_PKS4_PKT4_PKT5_llPT6_ll16rocsparse_order_21rocsparse_index_base_
                                        ; -- End function
	.section	.AMDGPU.csdata,"",@progbits
; Kernel info:
; codeLenInByte = 1716
; NumSgprs: 36
; NumVgprs: 62
; NumAgprs: 0
; TotalNumVgprs: 62
; ScratchSize: 0
; MemoryBound: 0
; FloatMode: 240
; IeeeMode: 1
; LDSByteSize: 3072 bytes/workgroup (compile time only)
; SGPRBlocks: 4
; VGPRBlocks: 7
; NumSGPRsForWavesPerEU: 36
; NumVGPRsForWavesPerEU: 62
; AccumOffset: 64
; Occupancy: 8
; WaveLimiterHint : 1
; COMPUTE_PGM_RSRC2:SCRATCH_EN: 0
; COMPUTE_PGM_RSRC2:USER_SGPR: 6
; COMPUTE_PGM_RSRC2:TRAP_HANDLER: 0
; COMPUTE_PGM_RSRC2:TGID_X_EN: 1
; COMPUTE_PGM_RSRC2:TGID_Y_EN: 1
; COMPUTE_PGM_RSRC2:TGID_Z_EN: 1
; COMPUTE_PGM_RSRC2:TIDIG_COMP_CNT: 0
; COMPUTE_PGM_RSRC3_GFX90A:ACCUM_OFFSET: 15
; COMPUTE_PGM_RSRC3_GFX90A:TG_SPLIT: 0
	.section	.text._ZN9rocsparse31csrmmnn_row_split_shared_kernelILj256ELj8EdlldddEEvNS_24const_host_device_scalarIT1_EES3_bbbT3_S4_llPKT2_PKS4_PKT4_PKT5_llPT6_ll16rocsparse_order_21rocsparse_index_base_,"axG",@progbits,_ZN9rocsparse31csrmmnn_row_split_shared_kernelILj256ELj8EdlldddEEvNS_24const_host_device_scalarIT1_EES3_bbbT3_S4_llPKT2_PKS4_PKT4_PKT5_llPT6_ll16rocsparse_order_21rocsparse_index_base_,comdat
	.protected	_ZN9rocsparse31csrmmnn_row_split_shared_kernelILj256ELj8EdlldddEEvNS_24const_host_device_scalarIT1_EES3_bbbT3_S4_llPKT2_PKS4_PKT4_PKT5_llPT6_ll16rocsparse_order_21rocsparse_index_base_ ; -- Begin function _ZN9rocsparse31csrmmnn_row_split_shared_kernelILj256ELj8EdlldddEEvNS_24const_host_device_scalarIT1_EES3_bbbT3_S4_llPKT2_PKS4_PKT4_PKT5_llPT6_ll16rocsparse_order_21rocsparse_index_base_
	.globl	_ZN9rocsparse31csrmmnn_row_split_shared_kernelILj256ELj8EdlldddEEvNS_24const_host_device_scalarIT1_EES3_bbbT3_S4_llPKT2_PKS4_PKT4_PKT5_llPT6_ll16rocsparse_order_21rocsparse_index_base_
	.p2align	8
	.type	_ZN9rocsparse31csrmmnn_row_split_shared_kernelILj256ELj8EdlldddEEvNS_24const_host_device_scalarIT1_EES3_bbbT3_S4_llPKT2_PKS4_PKT4_PKT5_llPT6_ll16rocsparse_order_21rocsparse_index_base_,@function
_ZN9rocsparse31csrmmnn_row_split_shared_kernelILj256ELj8EdlldddEEvNS_24const_host_device_scalarIT1_EES3_bbbT3_S4_llPKT2_PKS4_PKT4_PKT5_llPT6_ll16rocsparse_order_21rocsparse_index_base_: ; @_ZN9rocsparse31csrmmnn_row_split_shared_kernelILj256ELj8EdlldddEEvNS_24const_host_device_scalarIT1_EES3_bbbT3_S4_llPKT2_PKS4_PKT4_PKT5_llPT6_ll16rocsparse_order_21rocsparse_index_base_
; %bb.0:
	s_load_dword s9, s[4:5], 0x10
	s_load_dwordx4 s[0:3], s[4:5], 0x0
	s_waitcnt lgkmcnt(0)
	s_bitcmp1_b32 s9, 0
	s_cselect_b64 s[12:13], -1, 0
	s_xor_b64 s[10:11], s[12:13], -1
	s_and_b64 vcc, exec, s[12:13]
	v_pk_mov_b32 v[12:13], s[0:1], s[0:1] op_sel:[0,1]
	s_cbranch_vccnz .LBB5_2
; %bb.1:
	v_pk_mov_b32 v[2:3], s[0:1], s[0:1] op_sel:[0,1]
	flat_load_dwordx2 v[12:13], v[2:3]
.LBB5_2:
	s_andn2_b64 vcc, exec, s[10:11]
	v_pk_mov_b32 v[6:7], s[2:3], s[2:3] op_sel:[0,1]
	s_cbranch_vccnz .LBB5_4
; %bb.3:
	v_pk_mov_b32 v[2:3], s[2:3], s[2:3] op_sel:[0,1]
	flat_load_dwordx2 v[6:7], v[2:3]
.LBB5_4:
	s_waitcnt vmcnt(0) lgkmcnt(0)
	v_cmp_neq_f64_e32 vcc, 0, v[12:13]
	v_cmp_neq_f64_e64 s[0:1], 1.0, v[6:7]
	s_or_b64 s[0:1], vcc, s[0:1]
	s_and_saveexec_b64 s[2:3], s[0:1]
	s_cbranch_execz .LBB5_25
; %bb.5:
	s_load_dwordx16 s[12:27], s[4:5], 0x18
	v_lshl_or_b32 v1, s6, 8, v0
	v_lshrrev_b32_e32 v10, 3, v1
	v_mov_b32_e32 v11, 0
	s_waitcnt lgkmcnt(0)
	v_cmp_gt_i64_e32 vcc, s[12:13], v[10:11]
	s_and_b64 exec, exec, vcc
	s_cbranch_execz .LBB5_25
; %bb.6:
	s_mul_i32 s0, s8, s17
	s_mul_hi_u32 s1, s8, s16
	s_add_i32 s1, s1, s0
	s_mul_i32 s0, s8, s16
	s_lshl_b64 s[0:1], s[0:1], 3
	s_add_u32 s0, s20, s0
	s_addc_u32 s1, s21, s1
	v_lshlrev_b32_e32 v15, 3, v10
	global_load_dwordx4 v[2:5], v15, s[0:1]
	s_load_dwordx8 s[36:43], s[4:5], 0x58
	s_load_dwordx4 s[28:31], s[4:5], 0x78
	v_and_b32_e32 v14, 7, v0
	s_mov_b32 s9, 0
	v_mov_b32_e32 v9, v11
	v_lshl_or_b32 v8, s7, 3, v14
	v_pk_mov_b32 v[18:19], 0, 0
	s_waitcnt vmcnt(0)
	v_cmp_lt_i64_e32 vcc, v[2:3], v[4:5]
	s_and_saveexec_b64 s[2:3], vcc
	s_cbranch_execz .LBB5_14
; %bb.7:
	s_waitcnt lgkmcnt(0)
	v_mad_u64_u32 v[18:19], s[0:1], v8, s36, 0
	v_mov_b32_e32 v20, v19
	v_mad_u64_u32 v[20:21], s[0:1], v8, s37, v[20:21]
	s_mul_i32 s0, s8, s39
	s_mul_hi_u32 s1, s8, s38
	v_lshlrev_b32_e32 v0, 3, v0
	s_add_i32 s1, s1, s0
	s_mul_i32 s0, s8, s38
	v_and_b32_e32 v11, 0x7c0, v0
	s_lshl_b64 s[0:1], s[0:1], 3
	v_mov_b32_e32 v19, v20
	v_lshlrev_b32_e32 v1, 3, v14
	v_or_b32_e32 v27, 0x800, v11
	s_add_u32 s0, s0, s26
	v_or_b32_e32 v26, v11, v1
	v_or_b32_e32 v28, v27, v1
	v_lshlrev_b64 v[0:1], 3, v[18:19]
	s_addc_u32 s1, s1, s27
	v_mov_b32_e32 v18, s1
	v_add_co_u32_e64 v29, s[0:1], s0, v0
	v_mov_b32_e32 v0, s18
	v_addc_co_u32_e64 v30, s[0:1], v18, v1, s[0:1]
	v_mad_u64_u32 v[0:1], s[0:1], s8, v0, v[2:3]
	s_mul_i32 s0, s8, s19
	s_mov_b32 s10, s31
	v_add_u32_e32 v1, s0, v1
	v_add_co_u32_e64 v0, s[0:1], v0, v14
	v_subrev_co_u32_e32 v4, vcc, s10, v4
	v_addc_co_u32_e64 v1, s[0:1], 0, v1, s[0:1]
	v_subbrev_co_u32_e32 v5, vcc, 0, v5, vcc
	v_subrev_co_u32_e64 v0, s[0:1], s10, v0
	v_subrev_co_u32_e32 v16, vcc, s10, v2
	v_subbrev_co_u32_e64 v1, s[0:1], 0, v1, s[0:1]
	v_subbrev_co_u32_e32 v17, vcc, 0, v3, vcc
	v_lshlrev_b64 v[2:3], 3, v[0:1]
	v_mov_b32_e32 v1, s23
	v_add_co_u32_e64 v0, s[0:1], s22, v2
	v_addc_co_u32_e64 v1, s[0:1], v1, v3, s[0:1]
	v_mov_b32_e32 v18, s25
	v_add_co_u32_e64 v2, s[0:1], s24, v2
	v_pk_mov_b32 v[20:21], 0, 0
	v_cmp_gt_i64_e32 vcc, s[14:15], v[8:9]
	v_addc_co_u32_e64 v3, s[0:1], v18, v3, s[0:1]
	s_mov_b64 s[4:5], 0
	v_pk_mov_b32 v[18:19], v[20:21], v[20:21] op_sel:[0,1]
	s_branch .LBB5_9
.LBB5_8:                                ;   in Loop: Header=BB5_9 Depth=1
	s_or_b64 exec, exec, s[6:7]
	v_add_co_u32_e64 v16, s[0:1], 8, v16
	v_addc_co_u32_e64 v17, s[0:1], 0, v17, s[0:1]
	v_add_co_u32_e64 v0, s[0:1], 64, v0
	v_addc_co_u32_e64 v1, s[0:1], 0, v1, s[0:1]
	v_cmp_ge_i64_e64 s[0:1], v[16:17], v[4:5]
	s_or_b64 s[4:5], s[0:1], s[4:5]
	v_add_co_u32_e64 v2, s[0:1], 64, v2
	v_addc_co_u32_e64 v3, s[0:1], 0, v3, s[0:1]
	s_andn2_b64 exec, exec, s[4:5]
	s_cbranch_execz .LBB5_13
.LBB5_9:                                ; =>This Inner Loop Header: Depth=1
	v_add_co_u32_e64 v22, s[0:1], v14, v16
	v_addc_co_u32_e64 v23, s[0:1], 0, v17, s[0:1]
	v_cmp_lt_i64_e64 s[0:1], v[22:23], v[4:5]
	v_pk_mov_b32 v[24:25], v[20:21], v[20:21] op_sel:[0,1]
	v_pk_mov_b32 v[22:23], v[20:21], v[20:21] op_sel:[0,1]
	s_barrier
	s_and_saveexec_b64 s[6:7], s[0:1]
	s_cbranch_execz .LBB5_11
; %bb.10:                               ;   in Loop: Header=BB5_9 Depth=1
	global_load_dwordx2 v[24:25], v[0:1], off
	global_load_dwordx2 v[22:23], v[2:3], off
	v_mov_b32_e32 v31, s9
	s_waitcnt vmcnt(1)
	v_subrev_co_u32_e64 v24, s[0:1], s10, v24
	v_subb_co_u32_e64 v25, s[0:1], v25, v31, s[0:1]
.LBB5_11:                               ;   in Loop: Header=BB5_9 Depth=1
	s_or_b64 exec, exec, s[6:7]
	ds_write_b64 v26, v[24:25]
	s_waitcnt vmcnt(0)
	ds_write_b64 v28, v[22:23]
	s_waitcnt lgkmcnt(0)
	s_barrier
	s_and_saveexec_b64 s[6:7], vcc
	s_cbranch_execz .LBB5_8
; %bb.12:                               ;   in Loop: Header=BB5_9 Depth=1
	ds_read_b128 v[22:25], v11
	ds_read_b128 v[32:35], v11 offset:16
	ds_read_b128 v[36:39], v11 offset:32
	;; [unrolled: 1-line block ×3, first 2 shown]
	s_waitcnt lgkmcnt(3)
	v_lshlrev_b64 v[22:23], 3, v[22:23]
	v_add_co_u32_e64 v22, s[0:1], v29, v22
	v_addc_co_u32_e64 v23, s[0:1], v30, v23, s[0:1]
	v_lshlrev_b64 v[24:25], 3, v[24:25]
	v_add_co_u32_e64 v24, s[0:1], v29, v24
	v_addc_co_u32_e64 v25, s[0:1], v30, v25, s[0:1]
	s_waitcnt lgkmcnt(2)
	v_lshlrev_b64 v[32:33], 3, v[32:33]
	v_add_co_u32_e64 v32, s[0:1], v29, v32
	v_addc_co_u32_e64 v33, s[0:1], v30, v33, s[0:1]
	v_lshlrev_b64 v[34:35], 3, v[34:35]
	v_add_co_u32_e64 v34, s[0:1], v29, v34
	v_addc_co_u32_e64 v35, s[0:1], v30, v35, s[0:1]
	global_load_dwordx2 v[44:45], v[22:23], off
	global_load_dwordx2 v[46:47], v[24:25], off
	;; [unrolled: 1-line block ×4, first 2 shown]
	s_waitcnt lgkmcnt(1)
	v_lshlrev_b64 v[22:23], 3, v[36:37]
	v_add_co_u32_e64 v22, s[0:1], v29, v22
	v_addc_co_u32_e64 v23, s[0:1], v30, v23, s[0:1]
	v_lshlrev_b64 v[24:25], 3, v[38:39]
	v_add_co_u32_e64 v24, s[0:1], v29, v24
	v_addc_co_u32_e64 v25, s[0:1], v30, v25, s[0:1]
	s_waitcnt lgkmcnt(0)
	v_lshlrev_b64 v[32:33], 3, v[40:41]
	v_add_co_u32_e64 v32, s[0:1], v29, v32
	v_addc_co_u32_e64 v33, s[0:1], v30, v33, s[0:1]
	v_lshlrev_b64 v[34:35], 3, v[42:43]
	v_add_co_u32_e64 v34, s[0:1], v29, v34
	v_addc_co_u32_e64 v35, s[0:1], v30, v35, s[0:1]
	global_load_dwordx2 v[52:53], v[22:23], off
	global_load_dwordx2 v[54:55], v[24:25], off
	;; [unrolled: 1-line block ×4, first 2 shown]
	ds_read_b128 v[22:25], v27
	ds_read_b128 v[32:35], v27 offset:16
	ds_read_b128 v[36:39], v27 offset:32
	;; [unrolled: 1-line block ×3, first 2 shown]
	s_waitcnt vmcnt(7) lgkmcnt(3)
	v_fmac_f64_e32 v[18:19], v[22:23], v[44:45]
	s_waitcnt vmcnt(6)
	v_fmac_f64_e32 v[18:19], v[24:25], v[46:47]
	s_waitcnt vmcnt(5) lgkmcnt(2)
	v_fmac_f64_e32 v[18:19], v[32:33], v[48:49]
	s_waitcnt vmcnt(4)
	v_fmac_f64_e32 v[18:19], v[34:35], v[50:51]
	;; [unrolled: 4-line block ×4, first 2 shown]
	s_branch .LBB5_8
.LBB5_13:
	s_or_b64 exec, exec, s[4:5]
.LBB5_14:
	s_or_b64 exec, exec, s[2:3]
	v_cmp_gt_i64_e32 vcc, s[14:15], v[8:9]
	s_and_b64 exec, exec, vcc
	s_cbranch_execz .LBB5_25
; %bb.15:
	s_waitcnt lgkmcnt(0)
	s_cmp_lg_u32 s30, 1
	v_cmp_neq_f64_e32 vcc, 0, v[6:7]
	s_cselect_b64 s[2:3], -1, 0
	v_mul_f64 v[0:1], v[12:13], v[18:19]
	s_mul_i32 s9, s8, s29
	s_mul_hi_u32 s10, s8, s28
	s_mul_i32 s0, s8, s28
	s_and_saveexec_b64 s[4:5], vcc
	s_xor_b64 s[4:5], exec, s[4:5]
	s_cbranch_execz .LBB5_20
; %bb.16:
	s_add_i32 s1, s10, s9
	s_mov_b64 s[6:7], -1
	s_and_b64 vcc, exec, s[2:3]
	s_cbranch_vccz .LBB5_18
; %bb.17:
	v_mad_u64_u32 v[2:3], s[6:7], v10, s42, 0
	v_mov_b32_e32 v4, v3
	v_mad_u64_u32 v[4:5], s[6:7], v10, s43, v[4:5]
	v_mov_b32_e32 v3, v4
	v_lshlrev_b64 v[2:3], 3, v[2:3]
	v_mov_b32_e32 v4, s41
	v_add_co_u32_e32 v5, vcc, s40, v2
	v_addc_co_u32_e32 v4, vcc, v4, v3, vcc
	v_lshlrev_b64 v[2:3], 3, v[8:9]
	v_add_co_u32_e32 v2, vcc, v5, v2
	v_addc_co_u32_e32 v3, vcc, v4, v3, vcc
	s_lshl_b64 s[6:7], s[0:1], 3
	v_mov_b32_e32 v4, s7
	v_add_co_u32_e32 v2, vcc, s6, v2
	v_addc_co_u32_e32 v3, vcc, v3, v4, vcc
	global_load_dwordx2 v[4:5], v[2:3], off
	s_mov_b64 s[6:7], 0
	s_waitcnt vmcnt(0)
	v_fma_f64 v[4:5], v[6:7], v[4:5], v[0:1]
	global_store_dwordx2 v[2:3], v[4:5], off
.LBB5_18:
	s_andn2_b64 vcc, exec, s[6:7]
                                        ; implicit-def: $vgpr10_vgpr11
	s_cbranch_vccnz .LBB5_20
; %bb.19:
	v_mad_u64_u32 v[2:3], s[6:7], v8, s42, 0
	v_mov_b32_e32 v4, v3
	v_mad_u64_u32 v[4:5], s[6:7], v8, s43, v[4:5]
	v_mov_b32_e32 v3, v4
	v_lshlrev_b64 v[2:3], 3, v[2:3]
	v_mov_b32_e32 v4, s41
	v_add_co_u32_e32 v2, vcc, s40, v2
	v_addc_co_u32_e32 v3, vcc, v4, v3, vcc
	v_add_co_u32_e32 v2, vcc, v2, v15
	v_addc_co_u32_e32 v3, vcc, 0, v3, vcc
	s_lshl_b64 s[6:7], s[0:1], 3
	v_mov_b32_e32 v4, s7
	v_add_co_u32_e32 v2, vcc, s6, v2
	v_addc_co_u32_e32 v3, vcc, v3, v4, vcc
	global_load_dwordx2 v[4:5], v[2:3], off
                                        ; implicit-def: $vgpr8_vgpr9
                                        ; implicit-def: $vgpr15
                                        ; implicit-def: $vgpr10_vgpr11
	s_waitcnt vmcnt(0)
	v_fmac_f64_e32 v[0:1], v[6:7], v[4:5]
	global_store_dwordx2 v[2:3], v[0:1], off
                                        ; implicit-def: $vgpr0_vgpr1
.LBB5_20:
	s_andn2_saveexec_b64 s[4:5], s[4:5]
	s_cbranch_execz .LBB5_25
; %bb.21:
	s_add_i32 s1, s10, s9
	s_mov_b64 s[4:5], -1
	s_and_b64 vcc, exec, s[2:3]
	s_cbranch_vccz .LBB5_23
; %bb.22:
	v_mad_u64_u32 v[2:3], s[2:3], v10, s42, 0
	v_mov_b32_e32 v4, v3
	v_mad_u64_u32 v[4:5], s[2:3], v10, s43, v[4:5]
	v_mov_b32_e32 v3, v4
	v_lshlrev_b64 v[2:3], 3, v[2:3]
	v_mov_b32_e32 v4, s41
	v_add_co_u32_e32 v5, vcc, s40, v2
	v_addc_co_u32_e32 v4, vcc, v4, v3, vcc
	v_lshlrev_b64 v[2:3], 3, v[8:9]
	v_add_co_u32_e32 v2, vcc, v5, v2
	v_addc_co_u32_e32 v3, vcc, v4, v3, vcc
	s_lshl_b64 s[2:3], s[0:1], 3
	v_mov_b32_e32 v4, s3
	v_add_co_u32_e32 v2, vcc, s2, v2
	v_addc_co_u32_e32 v3, vcc, v3, v4, vcc
	global_store_dwordx2 v[2:3], v[0:1], off
	s_mov_b64 s[4:5], 0
.LBB5_23:
	s_andn2_b64 vcc, exec, s[4:5]
	s_cbranch_vccnz .LBB5_25
; %bb.24:
	v_mad_u64_u32 v[2:3], s[2:3], v8, s42, 0
	v_mov_b32_e32 v4, v3
	v_mad_u64_u32 v[4:5], s[2:3], v8, s43, v[4:5]
	v_mov_b32_e32 v3, v4
	v_lshlrev_b64 v[2:3], 3, v[2:3]
	v_mov_b32_e32 v4, s41
	v_add_co_u32_e32 v2, vcc, s40, v2
	v_addc_co_u32_e32 v3, vcc, v4, v3, vcc
	v_add_co_u32_e32 v2, vcc, v2, v15
	v_addc_co_u32_e32 v3, vcc, 0, v3, vcc
	s_lshl_b64 s[0:1], s[0:1], 3
	v_mov_b32_e32 v4, s1
	v_add_co_u32_e32 v2, vcc, s0, v2
	v_addc_co_u32_e32 v3, vcc, v3, v4, vcc
	global_store_dwordx2 v[2:3], v[0:1], off
.LBB5_25:
	s_endpgm
	.section	.rodata,"a",@progbits
	.p2align	6, 0x0
	.amdhsa_kernel _ZN9rocsparse31csrmmnn_row_split_shared_kernelILj256ELj8EdlldddEEvNS_24const_host_device_scalarIT1_EES3_bbbT3_S4_llPKT2_PKS4_PKT4_PKT5_llPT6_ll16rocsparse_order_21rocsparse_index_base_
		.amdhsa_group_segment_fixed_size 4096
		.amdhsa_private_segment_fixed_size 0
		.amdhsa_kernarg_size 136
		.amdhsa_user_sgpr_count 6
		.amdhsa_user_sgpr_private_segment_buffer 1
		.amdhsa_user_sgpr_dispatch_ptr 0
		.amdhsa_user_sgpr_queue_ptr 0
		.amdhsa_user_sgpr_kernarg_segment_ptr 1
		.amdhsa_user_sgpr_dispatch_id 0
		.amdhsa_user_sgpr_flat_scratch_init 0
		.amdhsa_user_sgpr_kernarg_preload_length 0
		.amdhsa_user_sgpr_kernarg_preload_offset 0
		.amdhsa_user_sgpr_private_segment_size 0
		.amdhsa_uses_dynamic_stack 0
		.amdhsa_system_sgpr_private_segment_wavefront_offset 0
		.amdhsa_system_sgpr_workgroup_id_x 1
		.amdhsa_system_sgpr_workgroup_id_y 1
		.amdhsa_system_sgpr_workgroup_id_z 1
		.amdhsa_system_sgpr_workgroup_info 0
		.amdhsa_system_vgpr_workitem_id 0
		.amdhsa_next_free_vgpr 60
		.amdhsa_next_free_sgpr 44
		.amdhsa_accum_offset 60
		.amdhsa_reserve_vcc 1
		.amdhsa_reserve_flat_scratch 0
		.amdhsa_float_round_mode_32 0
		.amdhsa_float_round_mode_16_64 0
		.amdhsa_float_denorm_mode_32 3
		.amdhsa_float_denorm_mode_16_64 3
		.amdhsa_dx10_clamp 1
		.amdhsa_ieee_mode 1
		.amdhsa_fp16_overflow 0
		.amdhsa_tg_split 0
		.amdhsa_exception_fp_ieee_invalid_op 0
		.amdhsa_exception_fp_denorm_src 0
		.amdhsa_exception_fp_ieee_div_zero 0
		.amdhsa_exception_fp_ieee_overflow 0
		.amdhsa_exception_fp_ieee_underflow 0
		.amdhsa_exception_fp_ieee_inexact 0
		.amdhsa_exception_int_div_zero 0
	.end_amdhsa_kernel
	.section	.text._ZN9rocsparse31csrmmnn_row_split_shared_kernelILj256ELj8EdlldddEEvNS_24const_host_device_scalarIT1_EES3_bbbT3_S4_llPKT2_PKS4_PKT4_PKT5_llPT6_ll16rocsparse_order_21rocsparse_index_base_,"axG",@progbits,_ZN9rocsparse31csrmmnn_row_split_shared_kernelILj256ELj8EdlldddEEvNS_24const_host_device_scalarIT1_EES3_bbbT3_S4_llPKT2_PKS4_PKT4_PKT5_llPT6_ll16rocsparse_order_21rocsparse_index_base_,comdat
.Lfunc_end5:
	.size	_ZN9rocsparse31csrmmnn_row_split_shared_kernelILj256ELj8EdlldddEEvNS_24const_host_device_scalarIT1_EES3_bbbT3_S4_llPKT2_PKS4_PKT4_PKT5_llPT6_ll16rocsparse_order_21rocsparse_index_base_, .Lfunc_end5-_ZN9rocsparse31csrmmnn_row_split_shared_kernelILj256ELj8EdlldddEEvNS_24const_host_device_scalarIT1_EES3_bbbT3_S4_llPKT2_PKS4_PKT4_PKT5_llPT6_ll16rocsparse_order_21rocsparse_index_base_
                                        ; -- End function
	.section	.AMDGPU.csdata,"",@progbits
; Kernel info:
; codeLenInByte = 1628
; NumSgprs: 48
; NumVgprs: 60
; NumAgprs: 0
; TotalNumVgprs: 60
; ScratchSize: 0
; MemoryBound: 0
; FloatMode: 240
; IeeeMode: 1
; LDSByteSize: 4096 bytes/workgroup (compile time only)
; SGPRBlocks: 5
; VGPRBlocks: 7
; NumSGPRsForWavesPerEU: 48
; NumVGPRsForWavesPerEU: 60
; AccumOffset: 60
; Occupancy: 8
; WaveLimiterHint : 0
; COMPUTE_PGM_RSRC2:SCRATCH_EN: 0
; COMPUTE_PGM_RSRC2:USER_SGPR: 6
; COMPUTE_PGM_RSRC2:TRAP_HANDLER: 0
; COMPUTE_PGM_RSRC2:TGID_X_EN: 1
; COMPUTE_PGM_RSRC2:TGID_Y_EN: 1
; COMPUTE_PGM_RSRC2:TGID_Z_EN: 1
; COMPUTE_PGM_RSRC2:TIDIG_COMP_CNT: 0
; COMPUTE_PGM_RSRC3_GFX90A:ACCUM_OFFSET: 14
; COMPUTE_PGM_RSRC3_GFX90A:TG_SPLIT: 0
	.section	.text._ZN9rocsparse31csrmmnn_row_split_shared_kernelILj256ELj8E21rocsparse_complex_numIfEiiS2_S2_S2_EEvNS_24const_host_device_scalarIT1_EES5_bbbT3_S6_llPKT2_PKS6_PKT4_PKT5_llPT6_ll16rocsparse_order_21rocsparse_index_base_,"axG",@progbits,_ZN9rocsparse31csrmmnn_row_split_shared_kernelILj256ELj8E21rocsparse_complex_numIfEiiS2_S2_S2_EEvNS_24const_host_device_scalarIT1_EES5_bbbT3_S6_llPKT2_PKS6_PKT4_PKT5_llPT6_ll16rocsparse_order_21rocsparse_index_base_,comdat
	.protected	_ZN9rocsparse31csrmmnn_row_split_shared_kernelILj256ELj8E21rocsparse_complex_numIfEiiS2_S2_S2_EEvNS_24const_host_device_scalarIT1_EES5_bbbT3_S6_llPKT2_PKS6_PKT4_PKT5_llPT6_ll16rocsparse_order_21rocsparse_index_base_ ; -- Begin function _ZN9rocsparse31csrmmnn_row_split_shared_kernelILj256ELj8E21rocsparse_complex_numIfEiiS2_S2_S2_EEvNS_24const_host_device_scalarIT1_EES5_bbbT3_S6_llPKT2_PKS6_PKT4_PKT5_llPT6_ll16rocsparse_order_21rocsparse_index_base_
	.globl	_ZN9rocsparse31csrmmnn_row_split_shared_kernelILj256ELj8E21rocsparse_complex_numIfEiiS2_S2_S2_EEvNS_24const_host_device_scalarIT1_EES5_bbbT3_S6_llPKT2_PKS6_PKT4_PKT5_llPT6_ll16rocsparse_order_21rocsparse_index_base_
	.p2align	8
	.type	_ZN9rocsparse31csrmmnn_row_split_shared_kernelILj256ELj8E21rocsparse_complex_numIfEiiS2_S2_S2_EEvNS_24const_host_device_scalarIT1_EES5_bbbT3_S6_llPKT2_PKS6_PKT4_PKT5_llPT6_ll16rocsparse_order_21rocsparse_index_base_,@function
_ZN9rocsparse31csrmmnn_row_split_shared_kernelILj256ELj8E21rocsparse_complex_numIfEiiS2_S2_S2_EEvNS_24const_host_device_scalarIT1_EES5_bbbT3_S6_llPKT2_PKS6_PKT4_PKT5_llPT6_ll16rocsparse_order_21rocsparse_index_base_: ; @_ZN9rocsparse31csrmmnn_row_split_shared_kernelILj256ELj8E21rocsparse_complex_numIfEiiS2_S2_S2_EEvNS_24const_host_device_scalarIT1_EES5_bbbT3_S6_llPKT2_PKS6_PKT4_PKT5_llPT6_ll16rocsparse_order_21rocsparse_index_base_
; %bb.0:
	s_load_dword s33, s[4:5], 0x10
	s_load_dwordx4 s[12:15], s[4:5], 0x0
	s_waitcnt lgkmcnt(0)
	s_bitcmp1_b32 s33, 0
	s_cselect_b64 s[0:1], -1, 0
	s_xor_b64 s[2:3], s[0:1], -1
	s_and_b64 vcc, exec, s[0:1]
	v_mov_b32_e32 v4, s12
	s_cbranch_vccnz .LBB6_2
; %bb.1:
	v_pk_mov_b32 v[2:3], s[12:13], s[12:13] op_sel:[0,1]
	flat_load_dword v4, v[2:3]
.LBB6_2:
	v_cndmask_b32_e64 v1, 0, 1, s[2:3]
	v_cmp_ne_u32_e64 s[0:1], 1, v1
	s_andn2_b64 vcc, exec, s[2:3]
	v_mov_b32_e32 v5, s13
	s_cbranch_vccz .LBB6_17
; %bb.3:
	s_and_b64 vcc, exec, s[0:1]
	v_mov_b32_e32 v2, s14
	s_cbranch_vccz .LBB6_18
.LBB6_4:
	s_and_b64 vcc, exec, s[0:1]
	v_mov_b32_e32 v3, s15
	s_cbranch_vccnz .LBB6_6
.LBB6_5:
	v_pk_mov_b32 v[6:7], s[14:15], s[14:15] op_sel:[0,1]
	flat_load_dword v3, v[6:7] offset:4
.LBB6_6:
	s_waitcnt vmcnt(0) lgkmcnt(0)
	v_and_b32_e32 v1, 0x7fffffff, v4
	v_cmp_eq_u32_e32 vcc, 0, v1
	v_cmp_eq_f32_e64 s[0:1], 0, v5
	s_and_b64 s[10:11], vcc, s[0:1]
	s_mov_b64 s[0:1], -1
	s_and_saveexec_b64 s[2:3], s[10:11]
; %bb.7:
	v_and_b32_e32 v1, 0x7fffffff, v3
	v_cmp_neq_f32_e32 vcc, 1.0, v2
	v_cmp_ne_u32_e64 s[0:1], 0, v1
	s_or_b64 s[0:1], vcc, s[0:1]
	s_orn2_b64 s[0:1], s[0:1], exec
; %bb.8:
	s_or_b64 exec, exec, s[2:3]
	s_and_saveexec_b64 s[2:3], s[0:1]
	s_cbranch_execz .LBB6_31
; %bb.9:
	s_load_dwordx4 s[28:31], s[4:5], 0x10
	v_lshl_or_b32 v1, s6, 8, v0
	v_lshrrev_b32_e32 v12, 3, v1
	s_waitcnt lgkmcnt(0)
	v_cmp_gt_i32_e32 vcc, s29, v12
	s_and_b64 exec, exec, vcc
	s_cbranch_execz .LBB6_31
; %bb.10:
	s_load_dwordx16 s[12:27], s[4:5], 0x20
	s_ashr_i32 s9, s8, 31
	v_lshlrev_b32_e32 v1, 2, v12
	s_load_dwordx2 s[10:11], s[4:5], 0x78
	v_and_b32_e32 v13, 7, v0
	s_waitcnt lgkmcnt(0)
	s_mul_i32 s1, s8, s13
	s_mul_hi_u32 s2, s8, s12
	s_mul_i32 s3, s9, s12
	s_add_i32 s1, s2, s1
	s_mul_i32 s0, s8, s12
	s_add_i32 s1, s1, s3
	s_lshl_b64 s[0:1], s[0:1], 2
	s_add_u32 s0, s16, s0
	s_addc_u32 s1, s17, s1
	global_load_dwordx2 v[10:11], v1, s[0:1]
	v_mov_b32_e32 v9, 0
	v_lshl_or_b32 v6, s7, 3, v13
	v_ashrrev_i32_e32 v7, 31, v6
	v_mov_b32_e32 v8, v9
	s_waitcnt vmcnt(0)
	v_cmp_lt_i32_e32 vcc, v10, v11
	s_and_saveexec_b64 s[6:7], vcc
	s_cbranch_execz .LBB6_20
; %bb.11:
	s_bitcmp1_b32 s33, 8
	v_lshrrev_b32_e32 v8, 3, v0
	s_cselect_b64 vcc, -1, 0
	s_bitcmp1_b32 s28, 16
	v_mad_u64_u32 v[0:1], s[0:1], v6, s24, 0
	s_mul_i32 s2, s8, s27
	s_mul_hi_u32 s3, s8, s26
	s_cselect_b64 s[12:13], -1, 0
	s_mul_i32 s0, s8, s15
	s_mul_hi_u32 s1, s8, s14
	s_add_i32 s2, s3, s2
	s_mul_i32 s3, s9, s26
	s_add_i32 s0, s1, s0
	s_mul_i32 s1, s9, s14
	;; [unrolled: 2-line block ×3, first 2 shown]
	v_mul_lo_u32 v9, v7, s24
	v_mul_lo_u32 v14, v6, s25
	s_add_i32 s24, s0, s1
	s_lshl_b64 s[2:3], s[2:3], 3
	v_add3_u32 v1, v1, v14, v9
	s_add_u32 s2, s2, s22
	v_mov_b32_e32 v9, 0x800
	v_lshlrev_b64 v[0:1], 3, v[0:1]
	s_addc_u32 s3, s3, s23
	v_lshl_or_b32 v14, v8, 5, v9
	v_lshlrev_b32_e32 v16, 6, v8
	v_mov_b32_e32 v8, s3
	v_add_co_u32_e64 v18, s[2:3], s2, v0
	v_addc_co_u32_e64 v19, s[2:3], v8, v1, s[2:3]
	v_mov_b32_e32 v8, 0
	v_subrev_u32_e32 v11, s11, v11
	v_subrev_u32_e32 v10, s11, v10
	v_lshl_or_b32 v15, v13, 2, v14
	v_lshl_or_b32 v17, v13, 3, v16
	s_mul_i32 s25, s8, s14
	v_cmp_gt_i32_e64 s[0:1], s30, v6
	s_mov_b64 s[14:15], 0
	v_mov_b32_e32 v9, v8
	s_branch .LBB6_13
.LBB6_12:                               ;   in Loop: Header=BB6_13 Depth=1
	s_or_b64 exec, exec, s[16:17]
	v_add_u32_e32 v10, 8, v10
	v_cmp_ge_i32_e64 s[2:3], v10, v11
	s_or_b64 s[14:15], s[2:3], s[14:15]
	s_andn2_b64 exec, exec, s[14:15]
	s_cbranch_execz .LBB6_19
.LBB6_13:                               ; =>This Inner Loop Header: Depth=1
	v_add_u32_e32 v21, v13, v10
	v_cmp_lt_i32_e64 s[2:3], v21, v11
	v_mov_b32_e32 v20, 0
	v_mov_b32_e32 v0, 0
	v_mov_b32_e32 v1, 0
	s_barrier
	s_and_saveexec_b64 s[16:17], s[2:3]
	s_cbranch_execz .LBB6_15
; %bb.14:                               ;   in Loop: Header=BB6_13 Depth=1
	v_ashrrev_i32_e32 v1, 31, v21
	v_mov_b32_e32 v20, s24
	v_add_co_u32_e64 v0, s[2:3], s25, v21
	v_addc_co_u32_e64 v1, s[2:3], v20, v1, s[2:3]
	v_lshlrev_b64 v[20:21], 2, v[0:1]
	v_mov_b32_e32 v22, s19
	v_add_co_u32_e64 v20, s[2:3], s18, v20
	v_addc_co_u32_e64 v21, s[2:3], v22, v21, s[2:3]
	v_lshlrev_b64 v[0:1], 3, v[0:1]
	global_load_dword v20, v[20:21], off
	v_mov_b32_e32 v21, s21
	v_add_co_u32_e64 v0, s[2:3], s20, v0
	v_addc_co_u32_e64 v1, s[2:3], v21, v1, s[2:3]
	global_load_dwordx2 v[0:1], v[0:1], off
	s_waitcnt vmcnt(1)
	v_subrev_u32_e32 v20, s11, v20
	s_waitcnt vmcnt(0)
	v_xor_b32_e32 v21, 0x80000000, v1
	v_cndmask_b32_e32 v1, v1, v21, vcc
.LBB6_15:                               ;   in Loop: Header=BB6_13 Depth=1
	s_or_b64 exec, exec, s[16:17]
	ds_write_b32 v15, v20
	ds_write_b64 v17, v[0:1]
	s_waitcnt lgkmcnt(0)
	s_barrier
	s_and_saveexec_b64 s[16:17], s[0:1]
	s_cbranch_execz .LBB6_12
; %bb.16:                               ;   in Loop: Header=BB6_13 Depth=1
	ds_read_b128 v[20:23], v14
	ds_read_b128 v[24:27], v14 offset:16
	s_waitcnt lgkmcnt(1)
	v_ashrrev_i32_e32 v1, 31, v20
	v_mov_b32_e32 v0, v20
	v_lshlrev_b64 v[0:1], 3, v[0:1]
	v_add_co_u32_e64 v0, s[2:3], v18, v0
	v_ashrrev_i32_e32 v29, 31, v21
	v_mov_b32_e32 v28, v21
	v_addc_co_u32_e64 v1, s[2:3], v19, v1, s[2:3]
	v_lshlrev_b64 v[20:21], 3, v[28:29]
	v_add_co_u32_e64 v20, s[2:3], v18, v20
	v_ashrrev_i32_e32 v29, 31, v22
	v_mov_b32_e32 v28, v22
	v_addc_co_u32_e64 v21, s[2:3], v19, v21, s[2:3]
	;; [unrolled: 5-line block ×3, first 2 shown]
	v_lshlrev_b64 v[22:23], 3, v[30:31]
	v_add_co_u32_e64 v22, s[2:3], v18, v22
	v_addc_co_u32_e64 v23, s[2:3], v19, v23, s[2:3]
	global_load_dwordx2 v[36:37], v[0:1], off
	global_load_dwordx2 v[38:39], v[20:21], off
	;; [unrolled: 1-line block ×4, first 2 shown]
	s_waitcnt lgkmcnt(0)
	v_ashrrev_i32_e32 v1, 31, v24
	v_mov_b32_e32 v0, v24
	v_lshlrev_b64 v[0:1], 3, v[0:1]
	v_add_co_u32_e64 v0, s[2:3], v18, v0
	v_ashrrev_i32_e32 v21, 31, v25
	v_mov_b32_e32 v20, v25
	v_addc_co_u32_e64 v1, s[2:3], v19, v1, s[2:3]
	v_lshlrev_b64 v[20:21], 3, v[20:21]
	v_add_co_u32_e64 v20, s[2:3], v18, v20
	v_ashrrev_i32_e32 v23, 31, v26
	v_mov_b32_e32 v22, v26
	v_addc_co_u32_e64 v21, s[2:3], v19, v21, s[2:3]
	v_lshlrev_b64 v[22:23], 3, v[22:23]
	global_load_dwordx2 v[0:1], v[0:1], off
	v_add_co_u32_e64 v22, s[2:3], v18, v22
	v_ashrrev_i32_e32 v25, 31, v27
	v_mov_b32_e32 v24, v27
	v_addc_co_u32_e64 v23, s[2:3], v19, v23, s[2:3]
	v_lshlrev_b64 v[24:25], 3, v[24:25]
	v_add_co_u32_e64 v24, s[2:3], v18, v24
	v_addc_co_u32_e64 v25, s[2:3], v19, v25, s[2:3]
	global_load_dwordx2 v[44:45], v[20:21], off
	global_load_dwordx2 v[46:47], v[22:23], off
	;; [unrolled: 1-line block ×3, first 2 shown]
	ds_read_b128 v[20:23], v16
	ds_read_b128 v[24:27], v16 offset:16
	ds_read_b128 v[28:31], v16 offset:32
	;; [unrolled: 1-line block ×3, first 2 shown]
	s_waitcnt lgkmcnt(3)
	v_xor_b32_e32 v50, 0x80000000, v23
	v_mov_b32_e32 v51, v22
	s_waitcnt lgkmcnt(2)
	v_xor_b32_e32 v52, 0x80000000, v27
	v_mov_b32_e32 v53, v26
	;; [unrolled: 3-line block ×4, first 2 shown]
	s_waitcnt vmcnt(7)
	v_cndmask_b32_e64 v58, v37, -v37, s[12:13]
	v_pk_fma_f32 v[8:9], v[20:21], v[36:37], v[8:9] op_sel_hi:[1,0,1]
	v_pk_fma_f32 v[8:9], v[20:21], v[58:59], v[8:9] op_sel:[1,0,0] op_sel_hi:[0,0,1] neg_lo:[1,0,0]
	s_waitcnt vmcnt(6)
	v_cndmask_b32_e64 v60, v39, -v39, s[12:13]
	v_pk_fma_f32 v[8:9], v[22:23], v[38:39], v[8:9] op_sel_hi:[1,0,1]
	v_pk_fma_f32 v[8:9], v[50:51], v[60:61], v[8:9] op_sel_hi:[1,0,1]
	s_waitcnt vmcnt(5)
	v_cndmask_b32_e64 v36, v41, -v41, s[12:13]
	v_pk_fma_f32 v[8:9], v[24:25], v[40:41], v[8:9] op_sel_hi:[1,0,1]
	v_pk_fma_f32 v[8:9], v[24:25], v[36:37], v[8:9] op_sel:[1,0,0] op_sel_hi:[0,0,1] neg_lo:[1,0,0]
	s_waitcnt vmcnt(4)
	v_cndmask_b32_e64 v62, v43, -v43, s[12:13]
	v_pk_fma_f32 v[8:9], v[26:27], v[42:43], v[8:9] op_sel_hi:[1,0,1]
	v_pk_fma_f32 v[8:9], v[52:53], v[62:63], v[8:9] op_sel_hi:[1,0,1]
	;; [unrolled: 8-line block ×4, first 2 shown]
	s_branch .LBB6_12
.LBB6_17:
	v_pk_mov_b32 v[2:3], s[12:13], s[12:13] op_sel:[0,1]
	flat_load_dword v5, v[2:3] offset:4
	s_and_b64 vcc, exec, s[0:1]
	v_mov_b32_e32 v2, s14
	s_cbranch_vccnz .LBB6_4
.LBB6_18:
	v_pk_mov_b32 v[2:3], s[14:15], s[14:15] op_sel:[0,1]
	flat_load_dword v2, v[2:3]
	s_and_b64 vcc, exec, s[0:1]
	v_mov_b32_e32 v3, s15
	s_cbranch_vccz .LBB6_5
	s_branch .LBB6_6
.LBB6_19:
	s_or_b64 exec, exec, s[14:15]
.LBB6_20:
	s_or_b64 exec, exec, s[6:7]
	v_cmp_gt_i32_e32 vcc, s30, v6
	s_and_b64 exec, exec, vcc
	s_cbranch_execz .LBB6_31
; %bb.21:
	s_load_dwordx4 s[12:15], s[4:5], 0x60
	s_load_dwordx2 s[6:7], s[4:5], 0x70
	v_and_b32_e32 v0, 0x7fffffff, v2
	v_cmp_ne_u32_e32 vcc, 0, v0
	v_cmp_neq_f32_e64 s[0:1], 0, v3
	s_or_b64 s[4:5], vcc, s[0:1]
	s_cmp_lg_u32 s10, 1
	s_cselect_b64 s[2:3], -1, 0
	s_waitcnt lgkmcnt(0)
	s_mul_i32 s10, s8, s7
	s_mul_hi_u32 s11, s8, s6
	s_mul_i32 s9, s9, s6
	s_mul_i32 s0, s8, s6
	s_and_saveexec_b64 s[6:7], s[4:5]
	s_xor_b64 s[4:5], exec, s[6:7]
	s_cbranch_execz .LBB6_26
; %bb.22:
	v_xor_b32_e32 v0, 0x80000000, v5
	v_mov_b32_e32 v1, v4
	s_add_i32 s1, s11, s10
	v_pk_mul_f32 v[0:1], v[8:9], v[0:1] op_sel:[1,0]
	s_add_i32 s1, s1, s9
	v_pk_fma_f32 v[0:1], v[4:5], v[8:9], v[0:1] op_sel_hi:[1,0,1]
	s_mov_b64 s[6:7], -1
	s_and_b64 vcc, exec, s[2:3]
	s_cbranch_vccz .LBB6_24
; %bb.23:
	v_mad_u64_u32 v[4:5], s[6:7], v12, s14, 0
	v_mov_b32_e32 v8, v5
	v_mad_u64_u32 v[8:9], s[6:7], v12, s15, v[8:9]
	v_mov_b32_e32 v5, v8
	v_lshlrev_b64 v[4:5], 3, v[4:5]
	v_mov_b32_e32 v8, s13
	v_add_co_u32_e32 v9, vcc, s12, v4
	v_addc_co_u32_e32 v8, vcc, v8, v5, vcc
	v_lshlrev_b64 v[4:5], 3, v[6:7]
	v_add_co_u32_e32 v4, vcc, v9, v4
	v_addc_co_u32_e32 v5, vcc, v8, v5, vcc
	s_lshl_b64 s[6:7], s[0:1], 3
	v_mov_b32_e32 v8, s7
	v_add_co_u32_e32 v4, vcc, s6, v4
	v_addc_co_u32_e32 v5, vcc, v5, v8, vcc
	global_load_dwordx2 v[8:9], v[4:5], off
	v_xor_b32_e32 v10, 0x80000000, v3
	v_mov_b32_e32 v11, v2
	s_mov_b64 s[6:7], 0
	s_waitcnt vmcnt(0)
	v_pk_fma_f32 v[14:15], v[2:3], v[8:9], v[0:1] op_sel_hi:[1,0,1]
	v_pk_fma_f32 v[8:9], v[10:11], v[8:9], v[14:15] op_sel:[0,1,0]
	global_store_dwordx2 v[4:5], v[8:9], off
.LBB6_24:
	s_andn2_b64 vcc, exec, s[6:7]
                                        ; implicit-def: $vgpr5
                                        ; implicit-def: $vgpr8_vgpr9
	s_cbranch_vccnz .LBB6_26
; %bb.25:
	v_mul_lo_u32 v7, v7, s14
	v_mul_lo_u32 v8, v6, s15
	v_mad_u64_u32 v[4:5], s[6:7], v6, s14, 0
	v_add3_u32 v5, v5, v8, v7
	v_lshlrev_b64 v[4:5], 3, v[4:5]
	v_mov_b32_e32 v6, s13
	v_add_co_u32_e32 v4, vcc, s12, v4
	v_addc_co_u32_e32 v5, vcc, v6, v5, vcc
	v_lshlrev_b32_e32 v6, 3, v12
	v_add_co_u32_e32 v4, vcc, v4, v6
	v_addc_co_u32_e32 v5, vcc, 0, v5, vcc
	s_lshl_b64 s[6:7], s[0:1], 3
	v_mov_b32_e32 v6, s7
	v_add_co_u32_e32 v4, vcc, s6, v4
	v_addc_co_u32_e32 v5, vcc, v5, v6, vcc
	global_load_dwordx2 v[6:7], v[4:5], off
	v_xor_b32_e32 v8, 0x80000000, v3
	v_mov_b32_e32 v9, v2
                                        ; implicit-def: $vgpr12
	s_waitcnt vmcnt(0)
	v_pk_fma_f32 v[0:1], v[2:3], v[6:7], v[0:1] op_sel_hi:[1,0,1]
	v_pk_fma_f32 v[0:1], v[8:9], v[6:7], v[0:1] op_sel:[0,1,0]
	global_store_dwordx2 v[4:5], v[0:1], off
                                        ; implicit-def: $vgpr6_vgpr7
                                        ; implicit-def: $vgpr5
                                        ; implicit-def: $vgpr8_vgpr9
.LBB6_26:
	s_andn2_saveexec_b64 s[4:5], s[4:5]
	s_cbranch_execz .LBB6_31
; %bb.27:
	v_xor_b32_e32 v0, 0x80000000, v5
	v_mov_b32_e32 v1, v4
	v_pk_mul_f32 v[0:1], v[8:9], v[0:1] op_sel:[1,0]
	s_add_i32 s1, s11, s10
	v_pk_fma_f32 v[0:1], v[4:5], v[8:9], v[0:1] op_sel_hi:[1,0,1]
	s_add_i32 s1, s1, s9
	s_mov_b64 s[4:5], -1
	s_and_b64 vcc, exec, s[2:3]
	s_cbranch_vccz .LBB6_29
; %bb.28:
	v_mad_u64_u32 v[2:3], s[2:3], v12, s14, 0
	v_mov_b32_e32 v4, v3
	v_mad_u64_u32 v[4:5], s[2:3], v12, s15, v[4:5]
	v_mov_b32_e32 v3, v4
	v_lshlrev_b64 v[2:3], 3, v[2:3]
	v_mov_b32_e32 v4, s13
	v_add_co_u32_e32 v5, vcc, s12, v2
	v_addc_co_u32_e32 v4, vcc, v4, v3, vcc
	v_lshlrev_b64 v[2:3], 3, v[6:7]
	v_add_co_u32_e32 v2, vcc, v5, v2
	v_addc_co_u32_e32 v3, vcc, v4, v3, vcc
	s_lshl_b64 s[2:3], s[0:1], 3
	v_mov_b32_e32 v4, s3
	v_add_co_u32_e32 v2, vcc, s2, v2
	v_addc_co_u32_e32 v3, vcc, v3, v4, vcc
	global_store_dwordx2 v[2:3], v[0:1], off
	s_mov_b64 s[4:5], 0
.LBB6_29:
	s_andn2_b64 vcc, exec, s[4:5]
	s_cbranch_vccnz .LBB6_31
; %bb.30:
	v_mul_lo_u32 v4, v7, s14
	v_mul_lo_u32 v5, v6, s15
	v_mad_u64_u32 v[2:3], s[2:3], v6, s14, 0
	v_add3_u32 v3, v3, v5, v4
	v_lshlrev_b64 v[2:3], 3, v[2:3]
	v_mov_b32_e32 v4, s13
	v_add_co_u32_e32 v2, vcc, s12, v2
	v_addc_co_u32_e32 v3, vcc, v4, v3, vcc
	v_lshlrev_b32_e32 v4, 3, v12
	v_add_co_u32_e32 v2, vcc, v2, v4
	v_addc_co_u32_e32 v3, vcc, 0, v3, vcc
	s_lshl_b64 s[0:1], s[0:1], 3
	v_mov_b32_e32 v4, s1
	v_add_co_u32_e32 v2, vcc, s0, v2
	v_addc_co_u32_e32 v3, vcc, v3, v4, vcc
	global_store_dwordx2 v[2:3], v[0:1], off
.LBB6_31:
	s_endpgm
	.section	.rodata,"a",@progbits
	.p2align	6, 0x0
	.amdhsa_kernel _ZN9rocsparse31csrmmnn_row_split_shared_kernelILj256ELj8E21rocsparse_complex_numIfEiiS2_S2_S2_EEvNS_24const_host_device_scalarIT1_EES5_bbbT3_S6_llPKT2_PKS6_PKT4_PKT5_llPT6_ll16rocsparse_order_21rocsparse_index_base_
		.amdhsa_group_segment_fixed_size 3072
		.amdhsa_private_segment_fixed_size 0
		.amdhsa_kernarg_size 128
		.amdhsa_user_sgpr_count 6
		.amdhsa_user_sgpr_private_segment_buffer 1
		.amdhsa_user_sgpr_dispatch_ptr 0
		.amdhsa_user_sgpr_queue_ptr 0
		.amdhsa_user_sgpr_kernarg_segment_ptr 1
		.amdhsa_user_sgpr_dispatch_id 0
		.amdhsa_user_sgpr_flat_scratch_init 0
		.amdhsa_user_sgpr_kernarg_preload_length 0
		.amdhsa_user_sgpr_kernarg_preload_offset 0
		.amdhsa_user_sgpr_private_segment_size 0
		.amdhsa_uses_dynamic_stack 0
		.amdhsa_system_sgpr_private_segment_wavefront_offset 0
		.amdhsa_system_sgpr_workgroup_id_x 1
		.amdhsa_system_sgpr_workgroup_id_y 1
		.amdhsa_system_sgpr_workgroup_id_z 1
		.amdhsa_system_sgpr_workgroup_info 0
		.amdhsa_system_vgpr_workitem_id 0
		.amdhsa_next_free_vgpr 64
		.amdhsa_next_free_sgpr 34
		.amdhsa_accum_offset 64
		.amdhsa_reserve_vcc 1
		.amdhsa_reserve_flat_scratch 0
		.amdhsa_float_round_mode_32 0
		.amdhsa_float_round_mode_16_64 0
		.amdhsa_float_denorm_mode_32 3
		.amdhsa_float_denorm_mode_16_64 3
		.amdhsa_dx10_clamp 1
		.amdhsa_ieee_mode 1
		.amdhsa_fp16_overflow 0
		.amdhsa_tg_split 0
		.amdhsa_exception_fp_ieee_invalid_op 0
		.amdhsa_exception_fp_denorm_src 0
		.amdhsa_exception_fp_ieee_div_zero 0
		.amdhsa_exception_fp_ieee_overflow 0
		.amdhsa_exception_fp_ieee_underflow 0
		.amdhsa_exception_fp_ieee_inexact 0
		.amdhsa_exception_int_div_zero 0
	.end_amdhsa_kernel
	.section	.text._ZN9rocsparse31csrmmnn_row_split_shared_kernelILj256ELj8E21rocsparse_complex_numIfEiiS2_S2_S2_EEvNS_24const_host_device_scalarIT1_EES5_bbbT3_S6_llPKT2_PKS6_PKT4_PKT5_llPT6_ll16rocsparse_order_21rocsparse_index_base_,"axG",@progbits,_ZN9rocsparse31csrmmnn_row_split_shared_kernelILj256ELj8E21rocsparse_complex_numIfEiiS2_S2_S2_EEvNS_24const_host_device_scalarIT1_EES5_bbbT3_S6_llPKT2_PKS6_PKT4_PKT5_llPT6_ll16rocsparse_order_21rocsparse_index_base_,comdat
.Lfunc_end6:
	.size	_ZN9rocsparse31csrmmnn_row_split_shared_kernelILj256ELj8E21rocsparse_complex_numIfEiiS2_S2_S2_EEvNS_24const_host_device_scalarIT1_EES5_bbbT3_S6_llPKT2_PKS6_PKT4_PKT5_llPT6_ll16rocsparse_order_21rocsparse_index_base_, .Lfunc_end6-_ZN9rocsparse31csrmmnn_row_split_shared_kernelILj256ELj8E21rocsparse_complex_numIfEiiS2_S2_S2_EEvNS_24const_host_device_scalarIT1_EES5_bbbT3_S6_llPKT2_PKS6_PKT4_PKT5_llPT6_ll16rocsparse_order_21rocsparse_index_base_
                                        ; -- End function
	.section	.AMDGPU.csdata,"",@progbits
; Kernel info:
; codeLenInByte = 2164
; NumSgprs: 38
; NumVgprs: 64
; NumAgprs: 0
; TotalNumVgprs: 64
; ScratchSize: 0
; MemoryBound: 0
; FloatMode: 240
; IeeeMode: 1
; LDSByteSize: 3072 bytes/workgroup (compile time only)
; SGPRBlocks: 4
; VGPRBlocks: 7
; NumSGPRsForWavesPerEU: 38
; NumVGPRsForWavesPerEU: 64
; AccumOffset: 64
; Occupancy: 8
; WaveLimiterHint : 1
; COMPUTE_PGM_RSRC2:SCRATCH_EN: 0
; COMPUTE_PGM_RSRC2:USER_SGPR: 6
; COMPUTE_PGM_RSRC2:TRAP_HANDLER: 0
; COMPUTE_PGM_RSRC2:TGID_X_EN: 1
; COMPUTE_PGM_RSRC2:TGID_Y_EN: 1
; COMPUTE_PGM_RSRC2:TGID_Z_EN: 1
; COMPUTE_PGM_RSRC2:TIDIG_COMP_CNT: 0
; COMPUTE_PGM_RSRC3_GFX90A:ACCUM_OFFSET: 15
; COMPUTE_PGM_RSRC3_GFX90A:TG_SPLIT: 0
	.section	.text._ZN9rocsparse31csrmmnn_row_split_shared_kernelILj256ELj8E21rocsparse_complex_numIfEliS2_S2_S2_EEvNS_24const_host_device_scalarIT1_EES5_bbbT3_S6_llPKT2_PKS6_PKT4_PKT5_llPT6_ll16rocsparse_order_21rocsparse_index_base_,"axG",@progbits,_ZN9rocsparse31csrmmnn_row_split_shared_kernelILj256ELj8E21rocsparse_complex_numIfEliS2_S2_S2_EEvNS_24const_host_device_scalarIT1_EES5_bbbT3_S6_llPKT2_PKS6_PKT4_PKT5_llPT6_ll16rocsparse_order_21rocsparse_index_base_,comdat
	.protected	_ZN9rocsparse31csrmmnn_row_split_shared_kernelILj256ELj8E21rocsparse_complex_numIfEliS2_S2_S2_EEvNS_24const_host_device_scalarIT1_EES5_bbbT3_S6_llPKT2_PKS6_PKT4_PKT5_llPT6_ll16rocsparse_order_21rocsparse_index_base_ ; -- Begin function _ZN9rocsparse31csrmmnn_row_split_shared_kernelILj256ELj8E21rocsparse_complex_numIfEliS2_S2_S2_EEvNS_24const_host_device_scalarIT1_EES5_bbbT3_S6_llPKT2_PKS6_PKT4_PKT5_llPT6_ll16rocsparse_order_21rocsparse_index_base_
	.globl	_ZN9rocsparse31csrmmnn_row_split_shared_kernelILj256ELj8E21rocsparse_complex_numIfEliS2_S2_S2_EEvNS_24const_host_device_scalarIT1_EES5_bbbT3_S6_llPKT2_PKS6_PKT4_PKT5_llPT6_ll16rocsparse_order_21rocsparse_index_base_
	.p2align	8
	.type	_ZN9rocsparse31csrmmnn_row_split_shared_kernelILj256ELj8E21rocsparse_complex_numIfEliS2_S2_S2_EEvNS_24const_host_device_scalarIT1_EES5_bbbT3_S6_llPKT2_PKS6_PKT4_PKT5_llPT6_ll16rocsparse_order_21rocsparse_index_base_,@function
_ZN9rocsparse31csrmmnn_row_split_shared_kernelILj256ELj8E21rocsparse_complex_numIfEliS2_S2_S2_EEvNS_24const_host_device_scalarIT1_EES5_bbbT3_S6_llPKT2_PKS6_PKT4_PKT5_llPT6_ll16rocsparse_order_21rocsparse_index_base_: ; @_ZN9rocsparse31csrmmnn_row_split_shared_kernelILj256ELj8E21rocsparse_complex_numIfEliS2_S2_S2_EEvNS_24const_host_device_scalarIT1_EES5_bbbT3_S6_llPKT2_PKS6_PKT4_PKT5_llPT6_ll16rocsparse_order_21rocsparse_index_base_
; %bb.0:
	s_load_dword s33, s[4:5], 0x10
	s_load_dwordx4 s[12:15], s[4:5], 0x0
	s_waitcnt lgkmcnt(0)
	s_bitcmp1_b32 s33, 0
	s_cselect_b64 s[0:1], -1, 0
	s_xor_b64 s[2:3], s[0:1], -1
	s_and_b64 vcc, exec, s[0:1]
	v_mov_b32_e32 v8, s12
	s_cbranch_vccnz .LBB7_2
; %bb.1:
	v_pk_mov_b32 v[2:3], s[12:13], s[12:13] op_sel:[0,1]
	flat_load_dword v8, v[2:3]
.LBB7_2:
	v_cndmask_b32_e64 v1, 0, 1, s[2:3]
	v_cmp_ne_u32_e64 s[0:1], 1, v1
	s_andn2_b64 vcc, exec, s[2:3]
	v_mov_b32_e32 v9, s13
	s_cbranch_vccz .LBB7_17
; %bb.3:
	s_and_b64 vcc, exec, s[0:1]
	v_mov_b32_e32 v6, s14
	s_cbranch_vccz .LBB7_18
.LBB7_4:
	s_and_b64 vcc, exec, s[0:1]
	v_mov_b32_e32 v7, s15
	s_cbranch_vccnz .LBB7_6
.LBB7_5:
	v_pk_mov_b32 v[2:3], s[14:15], s[14:15] op_sel:[0,1]
	flat_load_dword v7, v[2:3] offset:4
.LBB7_6:
	s_waitcnt vmcnt(0) lgkmcnt(0)
	v_and_b32_e32 v1, 0x7fffffff, v8
	v_cmp_eq_u32_e32 vcc, 0, v1
	v_cmp_eq_f32_e64 s[0:1], 0, v9
	s_and_b64 s[10:11], vcc, s[0:1]
	s_mov_b64 s[0:1], -1
	s_and_saveexec_b64 s[2:3], s[10:11]
; %bb.7:
	v_and_b32_e32 v1, 0x7fffffff, v7
	v_cmp_neq_f32_e32 vcc, 1.0, v6
	v_cmp_ne_u32_e64 s[0:1], 0, v1
	s_or_b64 s[0:1], vcc, s[0:1]
	s_orn2_b64 s[0:1], s[0:1], exec
; %bb.8:
	s_or_b64 exec, exec, s[2:3]
	s_and_saveexec_b64 s[2:3], s[0:1]
	s_cbranch_execz .LBB7_31
; %bb.9:
	s_load_dwordx4 s[28:31], s[4:5], 0x10
	v_lshl_or_b32 v1, s6, 8, v0
	v_lshrrev_b32_e32 v20, 3, v1
	s_waitcnt lgkmcnt(0)
	v_cmp_gt_i32_e32 vcc, s29, v20
	s_and_b64 exec, exec, vcc
	s_cbranch_execz .LBB7_31
; %bb.10:
	s_load_dwordx16 s[12:27], s[4:5], 0x20
	s_ashr_i32 s9, s8, 31
	v_lshlrev_b32_e32 v15, 3, v20
	s_load_dwordx2 s[10:11], s[4:5], 0x78
	v_and_b32_e32 v14, 7, v0
	s_waitcnt lgkmcnt(0)
	s_mul_i32 s1, s8, s13
	s_mul_hi_u32 s2, s8, s12
	s_mul_i32 s3, s9, s12
	s_add_i32 s1, s2, s1
	s_mul_i32 s0, s8, s12
	s_add_i32 s1, s1, s3
	s_lshl_b64 s[0:1], s[0:1], 3
	s_add_u32 s0, s16, s0
	s_addc_u32 s1, s17, s1
	global_load_dwordx4 v[2:5], v15, s[0:1]
	v_mov_b32_e32 v13, 0
	v_lshl_or_b32 v10, s7, 3, v14
	v_ashrrev_i32_e32 v11, 31, v10
	v_mov_b32_e32 v12, v13
	s_waitcnt vmcnt(0)
	v_cmp_lt_i64_e32 vcc, v[2:3], v[4:5]
	s_and_saveexec_b64 s[6:7], vcc
	s_cbranch_execz .LBB7_20
; %bb.11:
	s_mov_b32 s16, s11
	v_subrev_co_u32_e32 v4, vcc, s16, v4
	v_subbrev_co_u32_e32 v5, vcc, 0, v5, vcc
	s_bitcmp1_b32 s33, 8
	s_cselect_b64 vcc, -1, 0
	s_bitcmp1_b32 s28, 16
	s_mul_i32 s2, s8, s27
	s_mul_hi_u32 s3, s8, s26
	s_cselect_b64 s[12:13], -1, 0
	s_add_i32 s2, s3, s2
	s_mul_i32 s3, s9, s26
	v_lshrrev_b32_e32 v13, 3, v0
	v_subrev_co_u32_e64 v0, s[0:1], s16, v2
	s_add_i32 s3, s2, s3
	s_mul_i32 s2, s8, s26
	v_subbrev_co_u32_e64 v1, s[0:1], 0, v3, s[0:1]
	v_mul_lo_u32 v12, v11, s24
	v_mul_lo_u32 v18, v10, s25
	v_mad_u64_u32 v[16:17], s[0:1], v10, s24, 0
	s_lshl_b64 s[2:3], s[2:3], 3
	v_add3_u32 v17, v17, v18, v12
	s_add_u32 s2, s2, s22
	v_mov_b32_e32 v18, 0x800
	v_lshlrev_b64 v[16:17], 3, v[16:17]
	s_addc_u32 s3, s3, s23
	v_lshl_or_b32 v21, v13, 5, v18
	v_lshlrev_b32_e32 v23, 6, v13
	v_mov_b32_e32 v13, s3
	v_add_co_u32_e64 v25, s[2:3], s2, v16
	v_addc_co_u32_e64 v26, s[2:3], v13, v17, s[2:3]
	s_mul_i32 s2, s9, s14
	s_mul_i32 s3, s8, s15
	v_mov_b32_e32 v13, s14
	s_add_i32 s15, s3, s2
	v_mad_u64_u32 v[2:3], s[2:3], s8, v13, v[2:3]
	v_add_u32_e32 v3, s15, v3
	v_add_co_u32_e64 v2, s[2:3], v2, v14
	v_addc_co_u32_e64 v3, s[2:3], 0, v3, s[2:3]
	v_subrev_co_u32_e64 v16, s[2:3], s16, v2
	v_subbrev_co_u32_e64 v17, s[2:3], 0, v3, s[2:3]
	v_lshlrev_b64 v[2:3], 2, v[16:17]
	v_mov_b32_e32 v13, s19
	v_add_co_u32_e64 v2, s[2:3], s18, v2
	v_addc_co_u32_e64 v3, s[2:3], v13, v3, s[2:3]
	v_lshlrev_b64 v[16:17], 3, v[16:17]
	v_mov_b32_e32 v13, s21
	v_add_co_u32_e64 v16, s[2:3], s20, v16
	v_addc_co_u32_e64 v13, s[2:3], v17, v13, s[2:3]
	v_mov_b32_e32 v12, 0
	v_add_co_u32_e64 v16, s[2:3], 4, v16
	v_lshl_or_b32 v22, v14, 2, v21
	v_lshl_or_b32 v24, v14, 3, v23
	v_cmp_gt_i32_e64 s[0:1], s30, v10
	v_addc_co_u32_e64 v17, s[2:3], 0, v13, s[2:3]
	s_mov_b64 s[14:15], 0
	v_mov_b32_e32 v13, v12
	s_branch .LBB7_13
.LBB7_12:                               ;   in Loop: Header=BB7_13 Depth=1
	s_or_b64 exec, exec, s[16:17]
	v_add_co_u32_e64 v0, s[2:3], 8, v0
	v_addc_co_u32_e64 v1, s[2:3], 0, v1, s[2:3]
	v_add_co_u32_e64 v2, s[2:3], 32, v2
	v_addc_co_u32_e64 v3, s[2:3], 0, v3, s[2:3]
	v_cmp_ge_i64_e64 s[2:3], v[0:1], v[4:5]
	s_or_b64 s[14:15], s[2:3], s[14:15]
	v_add_co_u32_e64 v16, s[2:3], 64, v16
	v_addc_co_u32_e64 v17, s[2:3], 0, v17, s[2:3]
	s_andn2_b64 exec, exec, s[14:15]
	s_cbranch_execz .LBB7_19
.LBB7_13:                               ; =>This Inner Loop Header: Depth=1
	v_add_co_u32_e64 v18, s[2:3], v14, v0
	v_addc_co_u32_e64 v19, s[2:3], 0, v1, s[2:3]
	v_cmp_lt_i64_e64 s[2:3], v[18:19], v[4:5]
	v_mov_b32_e32 v27, 0
	v_mov_b32_e32 v18, 0
	;; [unrolled: 1-line block ×3, first 2 shown]
	s_barrier
	s_and_saveexec_b64 s[16:17], s[2:3]
	s_cbranch_execz .LBB7_15
; %bb.14:                               ;   in Loop: Header=BB7_13 Depth=1
	global_load_dword v27, v[2:3], off
	global_load_dwordx2 v[18:19], v[16:17], off offset:-4
	s_waitcnt vmcnt(1)
	v_subrev_u32_e32 v27, s11, v27
	s_waitcnt vmcnt(0)
	v_xor_b32_e32 v28, 0x80000000, v19
	v_cndmask_b32_e32 v19, v19, v28, vcc
.LBB7_15:                               ;   in Loop: Header=BB7_13 Depth=1
	s_or_b64 exec, exec, s[16:17]
	ds_write_b32 v22, v27
	ds_write_b64 v24, v[18:19]
	s_waitcnt lgkmcnt(0)
	s_barrier
	s_and_saveexec_b64 s[16:17], s[0:1]
	s_cbranch_execz .LBB7_12
; %bb.16:                               ;   in Loop: Header=BB7_13 Depth=1
	ds_read_b128 v[28:31], v21
	ds_read_b128 v[32:35], v21 offset:16
	s_waitcnt lgkmcnt(1)
	v_ashrrev_i32_e32 v19, 31, v28
	v_mov_b32_e32 v18, v28
	v_lshlrev_b64 v[18:19], 3, v[18:19]
	v_add_co_u32_e64 v18, s[2:3], v25, v18
	v_ashrrev_i32_e32 v37, 31, v29
	v_mov_b32_e32 v36, v29
	v_addc_co_u32_e64 v19, s[2:3], v26, v19, s[2:3]
	v_lshlrev_b64 v[28:29], 3, v[36:37]
	v_add_co_u32_e64 v28, s[2:3], v25, v28
	v_ashrrev_i32_e32 v37, 31, v30
	v_mov_b32_e32 v36, v30
	v_addc_co_u32_e64 v29, s[2:3], v26, v29, s[2:3]
	;; [unrolled: 5-line block ×3, first 2 shown]
	v_lshlrev_b64 v[30:31], 3, v[38:39]
	v_add_co_u32_e64 v30, s[2:3], v25, v30
	v_addc_co_u32_e64 v31, s[2:3], v26, v31, s[2:3]
	global_load_dwordx2 v[44:45], v[18:19], off
	global_load_dwordx2 v[46:47], v[28:29], off
	;; [unrolled: 1-line block ×4, first 2 shown]
	s_waitcnt lgkmcnt(0)
	v_ashrrev_i32_e32 v19, 31, v32
	v_mov_b32_e32 v18, v32
	v_lshlrev_b64 v[18:19], 3, v[18:19]
	v_add_co_u32_e64 v18, s[2:3], v25, v18
	v_ashrrev_i32_e32 v29, 31, v33
	v_mov_b32_e32 v28, v33
	v_addc_co_u32_e64 v19, s[2:3], v26, v19, s[2:3]
	v_lshlrev_b64 v[28:29], 3, v[28:29]
	v_add_co_u32_e64 v28, s[2:3], v25, v28
	v_ashrrev_i32_e32 v31, 31, v34
	v_mov_b32_e32 v30, v34
	v_addc_co_u32_e64 v29, s[2:3], v26, v29, s[2:3]
	;; [unrolled: 5-line block ×3, first 2 shown]
	v_lshlrev_b64 v[32:33], 3, v[32:33]
	v_add_co_u32_e64 v32, s[2:3], v25, v32
	v_addc_co_u32_e64 v33, s[2:3], v26, v33, s[2:3]
	global_load_dwordx2 v[52:53], v[18:19], off
	global_load_dwordx2 v[54:55], v[28:29], off
	;; [unrolled: 1-line block ×4, first 2 shown]
	ds_read_b128 v[28:31], v23
	ds_read_b128 v[32:35], v23 offset:16
	ds_read_b128 v[36:39], v23 offset:32
	;; [unrolled: 1-line block ×3, first 2 shown]
	s_waitcnt lgkmcnt(3)
	v_xor_b32_e32 v18, 0x80000000, v31
	v_mov_b32_e32 v19, v30
	s_waitcnt lgkmcnt(2)
	v_xor_b32_e32 v60, 0x80000000, v35
	v_mov_b32_e32 v61, v34
	;; [unrolled: 3-line block ×4, first 2 shown]
	s_waitcnt vmcnt(7)
	v_cndmask_b32_e64 v66, v45, -v45, s[12:13]
	v_pk_fma_f32 v[12:13], v[28:29], v[44:45], v[12:13] op_sel_hi:[1,0,1]
	v_pk_fma_f32 v[12:13], v[28:29], v[66:67], v[12:13] op_sel:[1,0,0] op_sel_hi:[0,0,1] neg_lo:[1,0,0]
	s_waitcnt vmcnt(6)
	v_cndmask_b32_e64 v68, v47, -v47, s[12:13]
	v_pk_fma_f32 v[12:13], v[30:31], v[46:47], v[12:13] op_sel_hi:[1,0,1]
	v_pk_fma_f32 v[12:13], v[18:19], v[68:69], v[12:13] op_sel_hi:[1,0,1]
	s_waitcnt vmcnt(5)
	v_cndmask_b32_e64 v44, v49, -v49, s[12:13]
	v_pk_fma_f32 v[12:13], v[32:33], v[48:49], v[12:13] op_sel_hi:[1,0,1]
	v_pk_fma_f32 v[12:13], v[32:33], v[44:45], v[12:13] op_sel:[1,0,0] op_sel_hi:[0,0,1] neg_lo:[1,0,0]
	s_waitcnt vmcnt(4)
	v_cndmask_b32_e64 v70, v51, -v51, s[12:13]
	v_pk_fma_f32 v[12:13], v[34:35], v[50:51], v[12:13] op_sel_hi:[1,0,1]
	v_pk_fma_f32 v[12:13], v[60:61], v[70:71], v[12:13] op_sel_hi:[1,0,1]
	;; [unrolled: 8-line block ×4, first 2 shown]
	s_branch .LBB7_12
.LBB7_17:
	v_pk_mov_b32 v[2:3], s[12:13], s[12:13] op_sel:[0,1]
	flat_load_dword v9, v[2:3] offset:4
	s_and_b64 vcc, exec, s[0:1]
	v_mov_b32_e32 v6, s14
	s_cbranch_vccnz .LBB7_4
.LBB7_18:
	v_pk_mov_b32 v[2:3], s[14:15], s[14:15] op_sel:[0,1]
	flat_load_dword v6, v[2:3]
	s_and_b64 vcc, exec, s[0:1]
	v_mov_b32_e32 v7, s15
	s_cbranch_vccz .LBB7_5
	s_branch .LBB7_6
.LBB7_19:
	s_or_b64 exec, exec, s[14:15]
.LBB7_20:
	s_or_b64 exec, exec, s[6:7]
	v_cmp_gt_i32_e32 vcc, s30, v10
	s_and_b64 exec, exec, vcc
	s_cbranch_execz .LBB7_31
; %bb.21:
	s_load_dwordx4 s[12:15], s[4:5], 0x60
	s_load_dwordx2 s[6:7], s[4:5], 0x70
	v_and_b32_e32 v0, 0x7fffffff, v6
	v_cmp_ne_u32_e32 vcc, 0, v0
	v_cmp_neq_f32_e64 s[0:1], 0, v7
	s_or_b64 s[4:5], vcc, s[0:1]
	s_cmp_lg_u32 s10, 1
	s_cselect_b64 s[2:3], -1, 0
	s_waitcnt lgkmcnt(0)
	s_mul_i32 s10, s8, s7
	s_mul_hi_u32 s11, s8, s6
	s_mul_i32 s9, s9, s6
	s_mul_i32 s0, s8, s6
	s_and_saveexec_b64 s[6:7], s[4:5]
	s_xor_b64 s[4:5], exec, s[6:7]
	s_cbranch_execz .LBB7_26
; %bb.22:
	v_xor_b32_e32 v0, 0x80000000, v9
	v_mov_b32_e32 v1, v8
	s_add_i32 s1, s11, s10
	v_pk_mul_f32 v[0:1], v[12:13], v[0:1] op_sel:[1,0]
	s_add_i32 s1, s1, s9
	v_pk_fma_f32 v[0:1], v[8:9], v[12:13], v[0:1] op_sel_hi:[1,0,1]
	s_mov_b64 s[6:7], -1
	s_and_b64 vcc, exec, s[2:3]
	s_cbranch_vccz .LBB7_24
; %bb.23:
	v_mad_u64_u32 v[2:3], s[6:7], v20, s14, 0
	v_mov_b32_e32 v4, v3
	v_mad_u64_u32 v[4:5], s[6:7], v20, s15, v[4:5]
	v_mov_b32_e32 v3, v4
	v_lshlrev_b64 v[2:3], 3, v[2:3]
	v_mov_b32_e32 v4, s13
	v_add_co_u32_e32 v5, vcc, s12, v2
	v_addc_co_u32_e32 v4, vcc, v4, v3, vcc
	v_lshlrev_b64 v[2:3], 3, v[10:11]
	v_add_co_u32_e32 v2, vcc, v5, v2
	v_addc_co_u32_e32 v3, vcc, v4, v3, vcc
	s_lshl_b64 s[6:7], s[0:1], 3
	v_mov_b32_e32 v4, s7
	v_add_co_u32_e32 v2, vcc, s6, v2
	v_addc_co_u32_e32 v3, vcc, v3, v4, vcc
	global_load_dwordx2 v[4:5], v[2:3], off
	v_xor_b32_e32 v8, 0x80000000, v7
	v_mov_b32_e32 v9, v6
	s_mov_b64 s[6:7], 0
	s_waitcnt vmcnt(0)
	v_pk_fma_f32 v[12:13], v[6:7], v[4:5], v[0:1] op_sel_hi:[1,0,1]
	v_pk_fma_f32 v[4:5], v[8:9], v[4:5], v[12:13] op_sel:[0,1,0]
	global_store_dwordx2 v[2:3], v[4:5], off
.LBB7_24:
	s_andn2_b64 vcc, exec, s[6:7]
                                        ; implicit-def: $vgpr9
                                        ; implicit-def: $vgpr12_vgpr13
                                        ; implicit-def: $vgpr20
	s_cbranch_vccnz .LBB7_26
; %bb.25:
	v_mul_lo_u32 v4, v11, s14
	v_mul_lo_u32 v5, v10, s15
	v_mad_u64_u32 v[2:3], s[6:7], v10, s14, 0
	v_add3_u32 v3, v3, v5, v4
	v_lshlrev_b64 v[2:3], 3, v[2:3]
	v_mov_b32_e32 v4, s13
	v_add_co_u32_e32 v2, vcc, s12, v2
	v_addc_co_u32_e32 v3, vcc, v4, v3, vcc
	v_add_co_u32_e32 v2, vcc, v2, v15
	v_addc_co_u32_e32 v3, vcc, 0, v3, vcc
	s_lshl_b64 s[6:7], s[0:1], 3
	v_mov_b32_e32 v4, s7
	v_add_co_u32_e32 v2, vcc, s6, v2
	v_addc_co_u32_e32 v3, vcc, v3, v4, vcc
	global_load_dwordx2 v[4:5], v[2:3], off
	v_xor_b32_e32 v8, 0x80000000, v7
	v_mov_b32_e32 v9, v6
                                        ; implicit-def: $vgpr10_vgpr11
                                        ; implicit-def: $vgpr15
                                        ; implicit-def: $vgpr12_vgpr13
                                        ; implicit-def: $vgpr20
	s_waitcnt vmcnt(0)
	v_pk_fma_f32 v[0:1], v[6:7], v[4:5], v[0:1] op_sel_hi:[1,0,1]
	v_pk_fma_f32 v[0:1], v[8:9], v[4:5], v[0:1] op_sel:[0,1,0]
	global_store_dwordx2 v[2:3], v[0:1], off
                                        ; implicit-def: $vgpr9
.LBB7_26:
	s_andn2_saveexec_b64 s[4:5], s[4:5]
	s_cbranch_execz .LBB7_31
; %bb.27:
	v_xor_b32_e32 v0, 0x80000000, v9
	v_mov_b32_e32 v1, v8
	v_pk_mul_f32 v[0:1], v[12:13], v[0:1] op_sel:[1,0]
	s_add_i32 s1, s11, s10
	v_pk_fma_f32 v[0:1], v[8:9], v[12:13], v[0:1] op_sel_hi:[1,0,1]
	s_add_i32 s1, s1, s9
	s_mov_b64 s[4:5], -1
	s_and_b64 vcc, exec, s[2:3]
	s_cbranch_vccz .LBB7_29
; %bb.28:
	v_mad_u64_u32 v[2:3], s[2:3], v20, s14, 0
	v_mov_b32_e32 v4, v3
	v_mad_u64_u32 v[4:5], s[2:3], v20, s15, v[4:5]
	v_mov_b32_e32 v3, v4
	v_lshlrev_b64 v[2:3], 3, v[2:3]
	v_mov_b32_e32 v4, s13
	v_add_co_u32_e32 v5, vcc, s12, v2
	v_addc_co_u32_e32 v4, vcc, v4, v3, vcc
	v_lshlrev_b64 v[2:3], 3, v[10:11]
	v_add_co_u32_e32 v2, vcc, v5, v2
	v_addc_co_u32_e32 v3, vcc, v4, v3, vcc
	s_lshl_b64 s[2:3], s[0:1], 3
	v_mov_b32_e32 v4, s3
	v_add_co_u32_e32 v2, vcc, s2, v2
	v_addc_co_u32_e32 v3, vcc, v3, v4, vcc
	global_store_dwordx2 v[2:3], v[0:1], off
	s_mov_b64 s[4:5], 0
.LBB7_29:
	s_andn2_b64 vcc, exec, s[4:5]
	s_cbranch_vccnz .LBB7_31
; %bb.30:
	v_mul_lo_u32 v4, v11, s14
	v_mul_lo_u32 v5, v10, s15
	v_mad_u64_u32 v[2:3], s[2:3], v10, s14, 0
	v_add3_u32 v3, v3, v5, v4
	v_lshlrev_b64 v[2:3], 3, v[2:3]
	v_mov_b32_e32 v4, s13
	v_add_co_u32_e32 v2, vcc, s12, v2
	v_addc_co_u32_e32 v3, vcc, v4, v3, vcc
	v_add_co_u32_e32 v2, vcc, v2, v15
	v_addc_co_u32_e32 v3, vcc, 0, v3, vcc
	s_lshl_b64 s[0:1], s[0:1], 3
	v_mov_b32_e32 v4, s1
	v_add_co_u32_e32 v2, vcc, s0, v2
	v_addc_co_u32_e32 v3, vcc, v3, v4, vcc
	global_store_dwordx2 v[2:3], v[0:1], off
.LBB7_31:
	s_endpgm
	.section	.rodata,"a",@progbits
	.p2align	6, 0x0
	.amdhsa_kernel _ZN9rocsparse31csrmmnn_row_split_shared_kernelILj256ELj8E21rocsparse_complex_numIfEliS2_S2_S2_EEvNS_24const_host_device_scalarIT1_EES5_bbbT3_S6_llPKT2_PKS6_PKT4_PKT5_llPT6_ll16rocsparse_order_21rocsparse_index_base_
		.amdhsa_group_segment_fixed_size 3072
		.amdhsa_private_segment_fixed_size 0
		.amdhsa_kernarg_size 128
		.amdhsa_user_sgpr_count 6
		.amdhsa_user_sgpr_private_segment_buffer 1
		.amdhsa_user_sgpr_dispatch_ptr 0
		.amdhsa_user_sgpr_queue_ptr 0
		.amdhsa_user_sgpr_kernarg_segment_ptr 1
		.amdhsa_user_sgpr_dispatch_id 0
		.amdhsa_user_sgpr_flat_scratch_init 0
		.amdhsa_user_sgpr_kernarg_preload_length 0
		.amdhsa_user_sgpr_kernarg_preload_offset 0
		.amdhsa_user_sgpr_private_segment_size 0
		.amdhsa_uses_dynamic_stack 0
		.amdhsa_system_sgpr_private_segment_wavefront_offset 0
		.amdhsa_system_sgpr_workgroup_id_x 1
		.amdhsa_system_sgpr_workgroup_id_y 1
		.amdhsa_system_sgpr_workgroup_id_z 1
		.amdhsa_system_sgpr_workgroup_info 0
		.amdhsa_system_vgpr_workitem_id 0
		.amdhsa_next_free_vgpr 80
		.amdhsa_next_free_sgpr 34
		.amdhsa_accum_offset 80
		.amdhsa_reserve_vcc 1
		.amdhsa_reserve_flat_scratch 0
		.amdhsa_float_round_mode_32 0
		.amdhsa_float_round_mode_16_64 0
		.amdhsa_float_denorm_mode_32 3
		.amdhsa_float_denorm_mode_16_64 3
		.amdhsa_dx10_clamp 1
		.amdhsa_ieee_mode 1
		.amdhsa_fp16_overflow 0
		.amdhsa_tg_split 0
		.amdhsa_exception_fp_ieee_invalid_op 0
		.amdhsa_exception_fp_denorm_src 0
		.amdhsa_exception_fp_ieee_div_zero 0
		.amdhsa_exception_fp_ieee_overflow 0
		.amdhsa_exception_fp_ieee_underflow 0
		.amdhsa_exception_fp_ieee_inexact 0
		.amdhsa_exception_int_div_zero 0
	.end_amdhsa_kernel
	.section	.text._ZN9rocsparse31csrmmnn_row_split_shared_kernelILj256ELj8E21rocsparse_complex_numIfEliS2_S2_S2_EEvNS_24const_host_device_scalarIT1_EES5_bbbT3_S6_llPKT2_PKS6_PKT4_PKT5_llPT6_ll16rocsparse_order_21rocsparse_index_base_,"axG",@progbits,_ZN9rocsparse31csrmmnn_row_split_shared_kernelILj256ELj8E21rocsparse_complex_numIfEliS2_S2_S2_EEvNS_24const_host_device_scalarIT1_EES5_bbbT3_S6_llPKT2_PKS6_PKT4_PKT5_llPT6_ll16rocsparse_order_21rocsparse_index_base_,comdat
.Lfunc_end7:
	.size	_ZN9rocsparse31csrmmnn_row_split_shared_kernelILj256ELj8E21rocsparse_complex_numIfEliS2_S2_S2_EEvNS_24const_host_device_scalarIT1_EES5_bbbT3_S6_llPKT2_PKS6_PKT4_PKT5_llPT6_ll16rocsparse_order_21rocsparse_index_base_, .Lfunc_end7-_ZN9rocsparse31csrmmnn_row_split_shared_kernelILj256ELj8E21rocsparse_complex_numIfEliS2_S2_S2_EEvNS_24const_host_device_scalarIT1_EES5_bbbT3_S6_llPKT2_PKS6_PKT4_PKT5_llPT6_ll16rocsparse_order_21rocsparse_index_base_
                                        ; -- End function
	.section	.AMDGPU.csdata,"",@progbits
; Kernel info:
; codeLenInByte = 2260
; NumSgprs: 38
; NumVgprs: 80
; NumAgprs: 0
; TotalNumVgprs: 80
; ScratchSize: 0
; MemoryBound: 0
; FloatMode: 240
; IeeeMode: 1
; LDSByteSize: 3072 bytes/workgroup (compile time only)
; SGPRBlocks: 4
; VGPRBlocks: 9
; NumSGPRsForWavesPerEU: 38
; NumVGPRsForWavesPerEU: 80
; AccumOffset: 80
; Occupancy: 6
; WaveLimiterHint : 1
; COMPUTE_PGM_RSRC2:SCRATCH_EN: 0
; COMPUTE_PGM_RSRC2:USER_SGPR: 6
; COMPUTE_PGM_RSRC2:TRAP_HANDLER: 0
; COMPUTE_PGM_RSRC2:TGID_X_EN: 1
; COMPUTE_PGM_RSRC2:TGID_Y_EN: 1
; COMPUTE_PGM_RSRC2:TGID_Z_EN: 1
; COMPUTE_PGM_RSRC2:TIDIG_COMP_CNT: 0
; COMPUTE_PGM_RSRC3_GFX90A:ACCUM_OFFSET: 19
; COMPUTE_PGM_RSRC3_GFX90A:TG_SPLIT: 0
	.section	.text._ZN9rocsparse31csrmmnn_row_split_shared_kernelILj256ELj8E21rocsparse_complex_numIfEllS2_S2_S2_EEvNS_24const_host_device_scalarIT1_EES5_bbbT3_S6_llPKT2_PKS6_PKT4_PKT5_llPT6_ll16rocsparse_order_21rocsparse_index_base_,"axG",@progbits,_ZN9rocsparse31csrmmnn_row_split_shared_kernelILj256ELj8E21rocsparse_complex_numIfEllS2_S2_S2_EEvNS_24const_host_device_scalarIT1_EES5_bbbT3_S6_llPKT2_PKS6_PKT4_PKT5_llPT6_ll16rocsparse_order_21rocsparse_index_base_,comdat
	.protected	_ZN9rocsparse31csrmmnn_row_split_shared_kernelILj256ELj8E21rocsparse_complex_numIfEllS2_S2_S2_EEvNS_24const_host_device_scalarIT1_EES5_bbbT3_S6_llPKT2_PKS6_PKT4_PKT5_llPT6_ll16rocsparse_order_21rocsparse_index_base_ ; -- Begin function _ZN9rocsparse31csrmmnn_row_split_shared_kernelILj256ELj8E21rocsparse_complex_numIfEllS2_S2_S2_EEvNS_24const_host_device_scalarIT1_EES5_bbbT3_S6_llPKT2_PKS6_PKT4_PKT5_llPT6_ll16rocsparse_order_21rocsparse_index_base_
	.globl	_ZN9rocsparse31csrmmnn_row_split_shared_kernelILj256ELj8E21rocsparse_complex_numIfEllS2_S2_S2_EEvNS_24const_host_device_scalarIT1_EES5_bbbT3_S6_llPKT2_PKS6_PKT4_PKT5_llPT6_ll16rocsparse_order_21rocsparse_index_base_
	.p2align	8
	.type	_ZN9rocsparse31csrmmnn_row_split_shared_kernelILj256ELj8E21rocsparse_complex_numIfEllS2_S2_S2_EEvNS_24const_host_device_scalarIT1_EES5_bbbT3_S6_llPKT2_PKS6_PKT4_PKT5_llPT6_ll16rocsparse_order_21rocsparse_index_base_,@function
_ZN9rocsparse31csrmmnn_row_split_shared_kernelILj256ELj8E21rocsparse_complex_numIfEllS2_S2_S2_EEvNS_24const_host_device_scalarIT1_EES5_bbbT3_S6_llPKT2_PKS6_PKT4_PKT5_llPT6_ll16rocsparse_order_21rocsparse_index_base_: ; @_ZN9rocsparse31csrmmnn_row_split_shared_kernelILj256ELj8E21rocsparse_complex_numIfEllS2_S2_S2_EEvNS_24const_host_device_scalarIT1_EES5_bbbT3_S6_llPKT2_PKS6_PKT4_PKT5_llPT6_ll16rocsparse_order_21rocsparse_index_base_
; %bb.0:
	s_load_dword s10, s[4:5], 0x10
	s_load_dwordx4 s[12:15], s[4:5], 0x0
	s_waitcnt lgkmcnt(0)
	s_bitcmp1_b32 s10, 0
	s_cselect_b64 s[0:1], -1, 0
	s_xor_b64 s[2:3], s[0:1], -1
	s_and_b64 vcc, exec, s[0:1]
	v_mov_b32_e32 v8, s12
	s_cbranch_vccnz .LBB8_2
; %bb.1:
	v_pk_mov_b32 v[2:3], s[12:13], s[12:13] op_sel:[0,1]
	flat_load_dword v8, v[2:3]
.LBB8_2:
	v_cndmask_b32_e64 v1, 0, 1, s[2:3]
	v_cmp_ne_u32_e64 s[0:1], 1, v1
	s_andn2_b64 vcc, exec, s[2:3]
	v_mov_b32_e32 v9, s13
	s_cbranch_vccz .LBB8_17
; %bb.3:
	s_and_b64 vcc, exec, s[0:1]
	v_mov_b32_e32 v6, s14
	s_cbranch_vccz .LBB8_18
.LBB8_4:
	s_and_b64 vcc, exec, s[0:1]
	v_mov_b32_e32 v7, s15
	s_cbranch_vccnz .LBB8_6
.LBB8_5:
	v_pk_mov_b32 v[2:3], s[14:15], s[14:15] op_sel:[0,1]
	flat_load_dword v7, v[2:3] offset:4
.LBB8_6:
	s_waitcnt vmcnt(0) lgkmcnt(0)
	v_and_b32_e32 v1, 0x7fffffff, v8
	v_cmp_eq_u32_e32 vcc, 0, v1
	v_cmp_eq_f32_e64 s[0:1], 0, v9
	s_and_b64 s[12:13], vcc, s[0:1]
	s_mov_b64 s[0:1], -1
	s_and_saveexec_b64 s[2:3], s[12:13]
; %bb.7:
	v_and_b32_e32 v1, 0x7fffffff, v7
	v_cmp_neq_f32_e32 vcc, 1.0, v6
	v_cmp_ne_u32_e64 s[0:1], 0, v1
	s_or_b64 s[0:1], vcc, s[0:1]
	s_orn2_b64 s[0:1], s[0:1], exec
; %bb.8:
	s_or_b64 exec, exec, s[2:3]
	s_and_saveexec_b64 s[2:3], s[0:1]
	s_cbranch_execz .LBB8_31
; %bb.9:
	s_load_dwordx16 s[12:27], s[4:5], 0x18
	v_lshl_or_b32 v1, s6, 8, v0
	v_lshrrev_b32_e32 v12, 3, v1
	v_mov_b32_e32 v13, 0
	s_waitcnt lgkmcnt(0)
	v_cmp_gt_i64_e32 vcc, s[12:13], v[12:13]
	s_and_b64 exec, exec, vcc
	s_cbranch_execz .LBB8_31
; %bb.10:
	s_mul_i32 s0, s8, s17
	s_mul_hi_u32 s1, s8, s16
	s_add_i32 s1, s1, s0
	s_mul_i32 s0, s8, s16
	s_lshl_b64 s[0:1], s[0:1], 3
	s_add_u32 s0, s20, s0
	s_addc_u32 s1, s21, s1
	v_lshlrev_b32_e32 v15, 3, v12
	global_load_dwordx4 v[2:5], v15, s[0:1]
	s_load_dwordx8 s[36:43], s[4:5], 0x58
	s_load_dwordx4 s[28:31], s[4:5], 0x78
	v_and_b32_e32 v14, 7, v0
	s_mov_b32 s9, 0
	v_mov_b32_e32 v11, v13
	v_mov_b32_e32 v19, v13
	v_lshl_or_b32 v10, s7, 3, v14
	v_mov_b32_e32 v18, v13
	s_waitcnt vmcnt(0)
	v_cmp_lt_i64_e32 vcc, v[2:3], v[4:5]
	s_and_saveexec_b64 s[4:5], vcc
	s_cbranch_execz .LBB8_20
; %bb.11:
	s_waitcnt lgkmcnt(0)
	s_mov_b32 s16, s31
	v_subrev_co_u32_e32 v4, vcc, s16, v4
	v_subbrev_co_u32_e32 v5, vcc, 0, v5, vcc
	s_bitcmp1_b32 s10, 8
	v_subrev_co_u32_e64 v16, s[0:1], s16, v2
	s_cselect_b64 vcc, -1, 0
	s_bitcmp1_b32 s10, 16
	v_subbrev_co_u32_e64 v17, s[0:1], 0, v3, s[0:1]
	v_mad_u64_u32 v[20:21], s[0:1], v10, s36, 0
	s_mul_i32 s2, s8, s39
	s_mul_hi_u32 s3, s8, s38
	s_cselect_b64 s[6:7], -1, 0
	v_mov_b32_e32 v18, v21
	v_lshlrev_b32_e32 v0, 3, v0
	s_add_i32 s3, s3, s2
	s_mul_i32 s2, s8, s38
	v_mad_u64_u32 v[18:19], s[0:1], v10, s37, v[18:19]
	v_and_b32_e32 v13, 0x7c0, v0
	s_lshl_b64 s[2:3], s[2:3], 3
	v_mov_b32_e32 v21, v18
	v_lshlrev_b32_e32 v1, 3, v14
	v_or_b32_e32 v25, 0x800, v13
	s_add_u32 s2, s2, s26
	v_or_b32_e32 v24, v13, v1
	v_or_b32_e32 v26, v25, v1
	v_lshlrev_b64 v[0:1], 3, v[20:21]
	s_addc_u32 s3, s3, s27
	v_mov_b32_e32 v19, s3
	v_add_co_u32_e64 v27, s[2:3], s2, v0
	v_mov_b32_e32 v0, s18
	v_addc_co_u32_e64 v28, s[2:3], v19, v1, s[2:3]
	v_mad_u64_u32 v[0:1], s[2:3], s8, v0, v[2:3]
	s_mul_i32 s2, s8, s19
	v_add_u32_e32 v1, s2, v1
	v_add_co_u32_e64 v0, s[2:3], v0, v14
	v_addc_co_u32_e64 v1, s[2:3], 0, v1, s[2:3]
	v_subrev_co_u32_e64 v0, s[2:3], s16, v0
	v_subbrev_co_u32_e64 v1, s[2:3], 0, v1, s[2:3]
	v_lshlrev_b64 v[2:3], 3, v[0:1]
	v_mov_b32_e32 v1, s23
	v_add_co_u32_e64 v0, s[2:3], s22, v2
	v_addc_co_u32_e64 v1, s[2:3], v1, v3, s[2:3]
	v_mov_b32_e32 v19, s25
	v_add_co_u32_e64 v2, s[2:3], s24, v2
	v_addc_co_u32_e64 v3, s[2:3], v3, v19, s[2:3]
	v_mov_b32_e32 v18, 0
	v_add_co_u32_e64 v2, s[2:3], 4, v2
	v_cmp_gt_i64_e64 s[0:1], s[14:15], v[10:11]
	v_addc_co_u32_e64 v3, s[2:3], 0, v3, s[2:3]
	s_mov_b64 s[10:11], 0
	v_mov_b32_e32 v19, v18
	s_branch .LBB8_13
.LBB8_12:                               ;   in Loop: Header=BB8_13 Depth=1
	s_or_b64 exec, exec, s[12:13]
	v_add_co_u32_e64 v16, s[2:3], 8, v16
	v_addc_co_u32_e64 v17, s[2:3], 0, v17, s[2:3]
	v_add_co_u32_e64 v0, s[2:3], 64, v0
	v_addc_co_u32_e64 v1, s[2:3], 0, v1, s[2:3]
	v_cmp_ge_i64_e64 s[2:3], v[16:17], v[4:5]
	s_or_b64 s[10:11], s[2:3], s[10:11]
	v_add_co_u32_e64 v2, s[2:3], 64, v2
	v_addc_co_u32_e64 v3, s[2:3], 0, v3, s[2:3]
	s_andn2_b64 exec, exec, s[10:11]
	s_cbranch_execz .LBB8_19
.LBB8_13:                               ; =>This Inner Loop Header: Depth=1
	v_add_co_u32_e64 v20, s[2:3], v14, v16
	v_addc_co_u32_e64 v21, s[2:3], 0, v17, s[2:3]
	v_cmp_lt_i64_e64 s[2:3], v[20:21], v[4:5]
	v_pk_mov_b32 v[22:23], 0, 0
	v_mov_b32_e32 v20, 0
	v_mov_b32_e32 v21, 0
	s_barrier
	s_and_saveexec_b64 s[12:13], s[2:3]
	s_cbranch_execz .LBB8_15
; %bb.14:                               ;   in Loop: Header=BB8_13 Depth=1
	global_load_dwordx2 v[22:23], v[0:1], off
	global_load_dwordx2 v[20:21], v[2:3], off offset:-4
	v_mov_b32_e32 v29, s9
	s_waitcnt vmcnt(1)
	v_subrev_co_u32_e64 v22, s[2:3], s16, v22
	v_subb_co_u32_e64 v23, s[2:3], v23, v29, s[2:3]
	s_waitcnt vmcnt(0)
	v_xor_b32_e32 v29, 0x80000000, v21
	v_cndmask_b32_e32 v21, v21, v29, vcc
.LBB8_15:                               ;   in Loop: Header=BB8_13 Depth=1
	s_or_b64 exec, exec, s[12:13]
	ds_write_b64 v24, v[22:23]
	ds_write_b64 v26, v[20:21]
	s_waitcnt lgkmcnt(0)
	s_barrier
	s_and_saveexec_b64 s[12:13], s[0:1]
	s_cbranch_execz .LBB8_12
; %bb.16:                               ;   in Loop: Header=BB8_13 Depth=1
	ds_read_b128 v[20:23], v13
	ds_read_b128 v[30:33], v13 offset:16
	ds_read_b128 v[34:37], v13 offset:32
	;; [unrolled: 1-line block ×3, first 2 shown]
	s_waitcnt lgkmcnt(3)
	v_lshlrev_b64 v[20:21], 3, v[20:21]
	v_add_co_u32_e64 v20, s[2:3], v27, v20
	v_addc_co_u32_e64 v21, s[2:3], v28, v21, s[2:3]
	global_load_dwordx2 v[54:55], v[20:21], off
	v_lshlrev_b64 v[20:21], 3, v[22:23]
	v_add_co_u32_e64 v20, s[2:3], v27, v20
	v_addc_co_u32_e64 v21, s[2:3], v28, v21, s[2:3]
	global_load_dwordx2 v[58:59], v[20:21], off
	s_waitcnt lgkmcnt(2)
	v_lshlrev_b64 v[20:21], 3, v[30:31]
	v_add_co_u32_e64 v20, s[2:3], v27, v20
	v_addc_co_u32_e64 v21, s[2:3], v28, v21, s[2:3]
	global_load_dwordx2 v[30:31], v[20:21], off
	ds_read_b128 v[20:23], v25
	ds_read_b128 v[42:45], v25 offset:16
	ds_read_b128 v[46:49], v25 offset:32
	;; [unrolled: 1-line block ×3, first 2 shown]
	s_waitcnt lgkmcnt(5)
	v_lshlrev_b64 v[36:37], 3, v[36:37]
	s_waitcnt lgkmcnt(4)
	v_lshlrev_b64 v[38:39], 3, v[38:39]
	v_lshlrev_b64 v[40:41], 3, v[40:41]
	s_waitcnt vmcnt(2)
	v_cndmask_b32_e64 v56, v55, -v55, s[6:7]
	s_waitcnt lgkmcnt(3)
	v_pk_fma_f32 v[18:19], v[20:21], v[54:55], v[18:19] op_sel_hi:[1,0,1]
	v_pk_fma_f32 v[18:19], v[20:21], v[56:57], v[18:19] op_sel:[1,0,0] op_sel_hi:[0,0,1] neg_lo:[1,0,0]
	v_xor_b32_e32 v20, 0x80000000, v23
	v_mov_b32_e32 v21, v22
	s_waitcnt vmcnt(1)
	v_cndmask_b32_e64 v60, v59, -v59, s[6:7]
	v_pk_fma_f32 v[18:19], v[22:23], v[58:59], v[18:19] op_sel_hi:[1,0,1]
	v_pk_fma_f32 v[18:19], v[20:21], v[60:61], v[18:19] op_sel_hi:[1,0,1]
	v_lshlrev_b64 v[20:21], 3, v[32:33]
	v_add_co_u32_e64 v20, s[2:3], v27, v20
	v_addc_co_u32_e64 v21, s[2:3], v28, v21, s[2:3]
	v_lshlrev_b64 v[32:33], 3, v[34:35]
	global_load_dwordx2 v[20:21], v[20:21], off
	v_add_co_u32_e64 v32, s[2:3], v27, v32
	v_addc_co_u32_e64 v33, s[2:3], v28, v33, s[2:3]
	global_load_dwordx2 v[32:33], v[32:33], off
	v_add_co_u32_e64 v36, s[2:3], v27, v36
	v_addc_co_u32_e64 v37, s[2:3], v28, v37, s[2:3]
	;; [unrolled: 3-line block ×4, first 2 shown]
	global_load_dwordx2 v[40:41], v[40:41], off
	s_waitcnt vmcnt(5)
	v_cndmask_b32_e64 v62, v31, -v31, s[6:7]
	s_waitcnt lgkmcnt(2)
	v_pk_fma_f32 v[18:19], v[42:43], v[30:31], v[18:19] op_sel_hi:[1,0,1]
	v_pk_fma_f32 v[18:19], v[42:43], v[62:63], v[18:19] op_sel:[1,0,0] op_sel_hi:[0,0,1] neg_lo:[1,0,0]
	v_xor_b32_e32 v30, 0x80000000, v45
	v_mov_b32_e32 v31, v44
	s_waitcnt vmcnt(4)
	v_cndmask_b32_e64 v22, v21, -v21, s[6:7]
	v_pk_fma_f32 v[18:19], v[44:45], v[20:21], v[18:19] op_sel_hi:[1,0,1]
	v_pk_fma_f32 v[18:19], v[30:31], v[22:23], v[18:19] op_sel_hi:[1,0,1]
	s_waitcnt lgkmcnt(1)
	v_xor_b32_e32 v20, 0x80000000, v49
	v_mov_b32_e32 v21, v48
	s_waitcnt vmcnt(3)
	v_cndmask_b32_e64 v34, v33, -v33, s[6:7]
	v_pk_fma_f32 v[18:19], v[46:47], v[32:33], v[18:19] op_sel_hi:[1,0,1]
	v_pk_fma_f32 v[18:19], v[46:47], v[34:35], v[18:19] op_sel:[1,0,0] op_sel_hi:[0,0,1] neg_lo:[1,0,0]
	s_waitcnt vmcnt(2)
	v_cndmask_b32_e64 v42, v37, -v37, s[6:7]
	v_pk_fma_f32 v[18:19], v[48:49], v[36:37], v[18:19] op_sel_hi:[1,0,1]
	v_pk_fma_f32 v[18:19], v[20:21], v[42:43], v[18:19] op_sel_hi:[1,0,1]
	s_waitcnt lgkmcnt(0)
	v_xor_b32_e32 v20, 0x80000000, v53
	v_mov_b32_e32 v21, v52
	s_waitcnt vmcnt(1)
	v_cndmask_b32_e64 v54, v39, -v39, s[6:7]
	v_pk_fma_f32 v[18:19], v[50:51], v[38:39], v[18:19] op_sel_hi:[1,0,1]
	v_pk_fma_f32 v[18:19], v[50:51], v[54:55], v[18:19] op_sel:[1,0,0] op_sel_hi:[0,0,1] neg_lo:[1,0,0]
	s_waitcnt vmcnt(0)
	v_cndmask_b32_e64 v56, v41, -v41, s[6:7]
	v_pk_fma_f32 v[18:19], v[52:53], v[40:41], v[18:19] op_sel_hi:[1,0,1]
	v_pk_fma_f32 v[18:19], v[20:21], v[56:57], v[18:19] op_sel_hi:[1,0,1]
	s_branch .LBB8_12
.LBB8_17:
	v_pk_mov_b32 v[2:3], s[12:13], s[12:13] op_sel:[0,1]
	flat_load_dword v9, v[2:3] offset:4
	s_and_b64 vcc, exec, s[0:1]
	v_mov_b32_e32 v6, s14
	s_cbranch_vccnz .LBB8_4
.LBB8_18:
	v_pk_mov_b32 v[2:3], s[14:15], s[14:15] op_sel:[0,1]
	flat_load_dword v6, v[2:3]
	s_and_b64 vcc, exec, s[0:1]
	v_mov_b32_e32 v7, s15
	s_cbranch_vccz .LBB8_5
	s_branch .LBB8_6
.LBB8_19:
	s_or_b64 exec, exec, s[10:11]
.LBB8_20:
	s_or_b64 exec, exec, s[4:5]
	v_cmp_gt_i64_e32 vcc, s[14:15], v[10:11]
	s_and_b64 exec, exec, vcc
	s_cbranch_execz .LBB8_31
; %bb.21:
	v_and_b32_e32 v0, 0x7fffffff, v6
	v_cmp_ne_u32_e32 vcc, 0, v0
	v_cmp_neq_f32_e64 s[0:1], 0, v7
	s_or_b64 s[4:5], vcc, s[0:1]
	s_waitcnt lgkmcnt(0)
	s_cmp_lg_u32 s30, 1
	s_cselect_b64 s[2:3], -1, 0
	s_mul_i32 s9, s8, s29
	s_mul_hi_u32 s10, s8, s28
	s_mul_i32 s0, s8, s28
	s_and_saveexec_b64 s[6:7], s[4:5]
	s_xor_b64 s[4:5], exec, s[6:7]
	s_cbranch_execz .LBB8_26
; %bb.22:
	v_xor_b32_e32 v0, 0x80000000, v9
	v_mov_b32_e32 v1, v8
	v_pk_mul_f32 v[0:1], v[18:19], v[0:1] op_sel:[1,0]
	s_add_i32 s1, s10, s9
	v_pk_fma_f32 v[0:1], v[8:9], v[18:19], v[0:1] op_sel_hi:[1,0,1]
	s_mov_b64 s[6:7], -1
	s_and_b64 vcc, exec, s[2:3]
	s_cbranch_vccz .LBB8_24
; %bb.23:
	v_mad_u64_u32 v[2:3], s[6:7], v12, s42, 0
	v_mov_b32_e32 v4, v3
	v_mad_u64_u32 v[4:5], s[6:7], v12, s43, v[4:5]
	v_mov_b32_e32 v3, v4
	v_lshlrev_b64 v[2:3], 3, v[2:3]
	v_mov_b32_e32 v4, s41
	v_add_co_u32_e32 v5, vcc, s40, v2
	v_addc_co_u32_e32 v4, vcc, v4, v3, vcc
	v_lshlrev_b64 v[2:3], 3, v[10:11]
	v_add_co_u32_e32 v2, vcc, v5, v2
	v_addc_co_u32_e32 v3, vcc, v4, v3, vcc
	s_lshl_b64 s[6:7], s[0:1], 3
	v_mov_b32_e32 v4, s7
	v_add_co_u32_e32 v2, vcc, s6, v2
	v_addc_co_u32_e32 v3, vcc, v3, v4, vcc
	global_load_dwordx2 v[4:5], v[2:3], off
	v_xor_b32_e32 v8, 0x80000000, v7
	v_mov_b32_e32 v9, v6
	s_mov_b64 s[6:7], 0
	s_waitcnt vmcnt(0)
	v_pk_fma_f32 v[12:13], v[6:7], v[4:5], v[0:1] op_sel_hi:[1,0,1]
	v_pk_fma_f32 v[4:5], v[8:9], v[4:5], v[12:13] op_sel:[0,1,0]
	global_store_dwordx2 v[2:3], v[4:5], off
.LBB8_24:
	s_andn2_b64 vcc, exec, s[6:7]
                                        ; implicit-def: $vgpr9
                                        ; implicit-def: $vgpr18_vgpr19
                                        ; implicit-def: $vgpr12_vgpr13
	s_cbranch_vccnz .LBB8_26
; %bb.25:
	v_mad_u64_u32 v[2:3], s[6:7], v10, s42, 0
	v_mov_b32_e32 v4, v3
	v_mad_u64_u32 v[4:5], s[6:7], v10, s43, v[4:5]
	v_mov_b32_e32 v3, v4
	v_lshlrev_b64 v[2:3], 3, v[2:3]
	v_mov_b32_e32 v4, s41
	v_add_co_u32_e32 v2, vcc, s40, v2
	v_addc_co_u32_e32 v3, vcc, v4, v3, vcc
	v_add_co_u32_e32 v2, vcc, v2, v15
	v_addc_co_u32_e32 v3, vcc, 0, v3, vcc
	s_lshl_b64 s[6:7], s[0:1], 3
	v_mov_b32_e32 v4, s7
	v_add_co_u32_e32 v2, vcc, s6, v2
	v_addc_co_u32_e32 v3, vcc, v3, v4, vcc
	global_load_dwordx2 v[4:5], v[2:3], off
	v_xor_b32_e32 v8, 0x80000000, v7
	v_mov_b32_e32 v9, v6
                                        ; implicit-def: $vgpr10_vgpr11
                                        ; implicit-def: $vgpr15
                                        ; implicit-def: $vgpr18_vgpr19
                                        ; implicit-def: $vgpr12_vgpr13
	s_waitcnt vmcnt(0)
	v_pk_fma_f32 v[0:1], v[6:7], v[4:5], v[0:1] op_sel_hi:[1,0,1]
	v_pk_fma_f32 v[0:1], v[8:9], v[4:5], v[0:1] op_sel:[0,1,0]
	global_store_dwordx2 v[2:3], v[0:1], off
                                        ; implicit-def: $vgpr9
.LBB8_26:
	s_andn2_saveexec_b64 s[4:5], s[4:5]
	s_cbranch_execz .LBB8_31
; %bb.27:
	v_xor_b32_e32 v0, 0x80000000, v9
	v_mov_b32_e32 v1, v8
	v_pk_mul_f32 v[0:1], v[18:19], v[0:1] op_sel:[1,0]
	v_pk_fma_f32 v[0:1], v[8:9], v[18:19], v[0:1] op_sel_hi:[1,0,1]
	s_add_i32 s1, s10, s9
	s_mov_b64 s[4:5], -1
	s_and_b64 vcc, exec, s[2:3]
	s_cbranch_vccz .LBB8_29
; %bb.28:
	v_mad_u64_u32 v[2:3], s[2:3], v12, s42, 0
	v_mov_b32_e32 v4, v3
	v_mad_u64_u32 v[4:5], s[2:3], v12, s43, v[4:5]
	v_mov_b32_e32 v3, v4
	v_lshlrev_b64 v[2:3], 3, v[2:3]
	v_mov_b32_e32 v4, s41
	v_add_co_u32_e32 v5, vcc, s40, v2
	v_addc_co_u32_e32 v4, vcc, v4, v3, vcc
	v_lshlrev_b64 v[2:3], 3, v[10:11]
	v_add_co_u32_e32 v2, vcc, v5, v2
	v_addc_co_u32_e32 v3, vcc, v4, v3, vcc
	s_lshl_b64 s[2:3], s[0:1], 3
	v_mov_b32_e32 v4, s3
	v_add_co_u32_e32 v2, vcc, s2, v2
	v_addc_co_u32_e32 v3, vcc, v3, v4, vcc
	global_store_dwordx2 v[2:3], v[0:1], off
	s_mov_b64 s[4:5], 0
.LBB8_29:
	s_andn2_b64 vcc, exec, s[4:5]
	s_cbranch_vccnz .LBB8_31
; %bb.30:
	v_mad_u64_u32 v[2:3], s[2:3], v10, s42, 0
	v_mov_b32_e32 v4, v3
	v_mad_u64_u32 v[4:5], s[2:3], v10, s43, v[4:5]
	v_mov_b32_e32 v3, v4
	v_lshlrev_b64 v[2:3], 3, v[2:3]
	v_mov_b32_e32 v4, s41
	v_add_co_u32_e32 v2, vcc, s40, v2
	v_addc_co_u32_e32 v3, vcc, v4, v3, vcc
	v_add_co_u32_e32 v2, vcc, v2, v15
	v_addc_co_u32_e32 v3, vcc, 0, v3, vcc
	s_lshl_b64 s[0:1], s[0:1], 3
	v_mov_b32_e32 v4, s1
	v_add_co_u32_e32 v2, vcc, s0, v2
	v_addc_co_u32_e32 v3, vcc, v3, v4, vcc
	global_store_dwordx2 v[2:3], v[0:1], off
.LBB8_31:
	s_endpgm
	.section	.rodata,"a",@progbits
	.p2align	6, 0x0
	.amdhsa_kernel _ZN9rocsparse31csrmmnn_row_split_shared_kernelILj256ELj8E21rocsparse_complex_numIfEllS2_S2_S2_EEvNS_24const_host_device_scalarIT1_EES5_bbbT3_S6_llPKT2_PKS6_PKT4_PKT5_llPT6_ll16rocsparse_order_21rocsparse_index_base_
		.amdhsa_group_segment_fixed_size 4096
		.amdhsa_private_segment_fixed_size 0
		.amdhsa_kernarg_size 136
		.amdhsa_user_sgpr_count 6
		.amdhsa_user_sgpr_private_segment_buffer 1
		.amdhsa_user_sgpr_dispatch_ptr 0
		.amdhsa_user_sgpr_queue_ptr 0
		.amdhsa_user_sgpr_kernarg_segment_ptr 1
		.amdhsa_user_sgpr_dispatch_id 0
		.amdhsa_user_sgpr_flat_scratch_init 0
		.amdhsa_user_sgpr_kernarg_preload_length 0
		.amdhsa_user_sgpr_kernarg_preload_offset 0
		.amdhsa_user_sgpr_private_segment_size 0
		.amdhsa_uses_dynamic_stack 0
		.amdhsa_system_sgpr_private_segment_wavefront_offset 0
		.amdhsa_system_sgpr_workgroup_id_x 1
		.amdhsa_system_sgpr_workgroup_id_y 1
		.amdhsa_system_sgpr_workgroup_id_z 1
		.amdhsa_system_sgpr_workgroup_info 0
		.amdhsa_system_vgpr_workitem_id 0
		.amdhsa_next_free_vgpr 64
		.amdhsa_next_free_sgpr 44
		.amdhsa_accum_offset 64
		.amdhsa_reserve_vcc 1
		.amdhsa_reserve_flat_scratch 0
		.amdhsa_float_round_mode_32 0
		.amdhsa_float_round_mode_16_64 0
		.amdhsa_float_denorm_mode_32 3
		.amdhsa_float_denorm_mode_16_64 3
		.amdhsa_dx10_clamp 1
		.amdhsa_ieee_mode 1
		.amdhsa_fp16_overflow 0
		.amdhsa_tg_split 0
		.amdhsa_exception_fp_ieee_invalid_op 0
		.amdhsa_exception_fp_denorm_src 0
		.amdhsa_exception_fp_ieee_div_zero 0
		.amdhsa_exception_fp_ieee_overflow 0
		.amdhsa_exception_fp_ieee_underflow 0
		.amdhsa_exception_fp_ieee_inexact 0
		.amdhsa_exception_int_div_zero 0
	.end_amdhsa_kernel
	.section	.text._ZN9rocsparse31csrmmnn_row_split_shared_kernelILj256ELj8E21rocsparse_complex_numIfEllS2_S2_S2_EEvNS_24const_host_device_scalarIT1_EES5_bbbT3_S6_llPKT2_PKS6_PKT4_PKT5_llPT6_ll16rocsparse_order_21rocsparse_index_base_,"axG",@progbits,_ZN9rocsparse31csrmmnn_row_split_shared_kernelILj256ELj8E21rocsparse_complex_numIfEllS2_S2_S2_EEvNS_24const_host_device_scalarIT1_EES5_bbbT3_S6_llPKT2_PKS6_PKT4_PKT5_llPT6_ll16rocsparse_order_21rocsparse_index_base_,comdat
.Lfunc_end8:
	.size	_ZN9rocsparse31csrmmnn_row_split_shared_kernelILj256ELj8E21rocsparse_complex_numIfEllS2_S2_S2_EEvNS_24const_host_device_scalarIT1_EES5_bbbT3_S6_llPKT2_PKS6_PKT4_PKT5_llPT6_ll16rocsparse_order_21rocsparse_index_base_, .Lfunc_end8-_ZN9rocsparse31csrmmnn_row_split_shared_kernelILj256ELj8E21rocsparse_complex_numIfEllS2_S2_S2_EEvNS_24const_host_device_scalarIT1_EES5_bbbT3_S6_llPKT2_PKS6_PKT4_PKT5_llPT6_ll16rocsparse_order_21rocsparse_index_base_
                                        ; -- End function
	.section	.AMDGPU.csdata,"",@progbits
; Kernel info:
; codeLenInByte = 2152
; NumSgprs: 48
; NumVgprs: 64
; NumAgprs: 0
; TotalNumVgprs: 64
; ScratchSize: 0
; MemoryBound: 0
; FloatMode: 240
; IeeeMode: 1
; LDSByteSize: 4096 bytes/workgroup (compile time only)
; SGPRBlocks: 5
; VGPRBlocks: 7
; NumSGPRsForWavesPerEU: 48
; NumVGPRsForWavesPerEU: 64
; AccumOffset: 64
; Occupancy: 8
; WaveLimiterHint : 0
; COMPUTE_PGM_RSRC2:SCRATCH_EN: 0
; COMPUTE_PGM_RSRC2:USER_SGPR: 6
; COMPUTE_PGM_RSRC2:TRAP_HANDLER: 0
; COMPUTE_PGM_RSRC2:TGID_X_EN: 1
; COMPUTE_PGM_RSRC2:TGID_Y_EN: 1
; COMPUTE_PGM_RSRC2:TGID_Z_EN: 1
; COMPUTE_PGM_RSRC2:TIDIG_COMP_CNT: 0
; COMPUTE_PGM_RSRC3_GFX90A:ACCUM_OFFSET: 15
; COMPUTE_PGM_RSRC3_GFX90A:TG_SPLIT: 0
	.section	.text._ZN9rocsparse31csrmmnn_row_split_shared_kernelILj256ELj8E21rocsparse_complex_numIdEiiS2_S2_S2_EEvNS_24const_host_device_scalarIT1_EES5_bbbT3_S6_llPKT2_PKS6_PKT4_PKT5_llPT6_ll16rocsparse_order_21rocsparse_index_base_,"axG",@progbits,_ZN9rocsparse31csrmmnn_row_split_shared_kernelILj256ELj8E21rocsparse_complex_numIdEiiS2_S2_S2_EEvNS_24const_host_device_scalarIT1_EES5_bbbT3_S6_llPKT2_PKS6_PKT4_PKT5_llPT6_ll16rocsparse_order_21rocsparse_index_base_,comdat
	.protected	_ZN9rocsparse31csrmmnn_row_split_shared_kernelILj256ELj8E21rocsparse_complex_numIdEiiS2_S2_S2_EEvNS_24const_host_device_scalarIT1_EES5_bbbT3_S6_llPKT2_PKS6_PKT4_PKT5_llPT6_ll16rocsparse_order_21rocsparse_index_base_ ; -- Begin function _ZN9rocsparse31csrmmnn_row_split_shared_kernelILj256ELj8E21rocsparse_complex_numIdEiiS2_S2_S2_EEvNS_24const_host_device_scalarIT1_EES5_bbbT3_S6_llPKT2_PKS6_PKT4_PKT5_llPT6_ll16rocsparse_order_21rocsparse_index_base_
	.globl	_ZN9rocsparse31csrmmnn_row_split_shared_kernelILj256ELj8E21rocsparse_complex_numIdEiiS2_S2_S2_EEvNS_24const_host_device_scalarIT1_EES5_bbbT3_S6_llPKT2_PKS6_PKT4_PKT5_llPT6_ll16rocsparse_order_21rocsparse_index_base_
	.p2align	8
	.type	_ZN9rocsparse31csrmmnn_row_split_shared_kernelILj256ELj8E21rocsparse_complex_numIdEiiS2_S2_S2_EEvNS_24const_host_device_scalarIT1_EES5_bbbT3_S6_llPKT2_PKS6_PKT4_PKT5_llPT6_ll16rocsparse_order_21rocsparse_index_base_,@function
_ZN9rocsparse31csrmmnn_row_split_shared_kernelILj256ELj8E21rocsparse_complex_numIdEiiS2_S2_S2_EEvNS_24const_host_device_scalarIT1_EES5_bbbT3_S6_llPKT2_PKS6_PKT4_PKT5_llPT6_ll16rocsparse_order_21rocsparse_index_base_: ; @_ZN9rocsparse31csrmmnn_row_split_shared_kernelILj256ELj8E21rocsparse_complex_numIdEiiS2_S2_S2_EEvNS_24const_host_device_scalarIT1_EES5_bbbT3_S6_llPKT2_PKS6_PKT4_PKT5_llPT6_ll16rocsparse_order_21rocsparse_index_base_
; %bb.0:
	s_add_u32 flat_scratch_lo, s8, s13
	s_load_dword s33, s[6:7], 0x20
	s_load_dwordx8 s[16:23], s[6:7], 0x0
	s_addc_u32 flat_scratch_hi, s9, 0
	s_add_u32 s0, s0, s13
	s_load_dwordx2 s[14:15], s[4:5], 0x4
	s_addc_u32 s1, s1, 0
	s_waitcnt lgkmcnt(0)
	s_bitcmp1_b32 s33, 0
	s_cselect_b64 s[4:5], -1, 0
	s_mov_b64 s[8:9], src_shared_base
	s_and_b64 vcc, s[4:5], exec
	s_cselect_b32 s8, s9, s17
	s_lshr_b32 s9, s14, 16
	v_and_b32_e32 v2, 0x3ff, v0
	s_mul_i32 s9, s9, s15
	v_mul_lo_u32 v1, s9, v2
	v_bfe_u32 v4, v0, 10, 10
	v_mad_u32_u24 v1, v4, s15, v1
	v_bfe_u32 v0, v0, 20, 10
	v_add_lshl_u32 v4, v1, v0, 3
	v_pk_mov_b32 v[0:1], s[16:17], s[16:17] op_sel:[0,1]
	ds_write_b64 v4, v[0:1] offset:5120
	v_mov_b32_e32 v0, s20
	v_mov_b32_e32 v3, s16
	v_add_u32_e32 v5, 0x1400, v4
	buffer_store_dword v0, off, s[0:3], 0
	v_mov_b32_e32 v0, s21
	buffer_store_dword v0, off, s[0:3], 0 offset:4
	v_cndmask_b32_e64 v0, v3, v5, s[4:5]
	v_mov_b32_e32 v1, s8
	flat_load_dwordx2 v[16:17], v[0:1]
	s_xor_b64 s[8:9], s[4:5], -1
	v_pk_mov_b32 v[18:19], s[18:19], s[18:19] op_sel:[0,1]
	s_cbranch_vccnz .LBB9_2
; %bb.1:
	v_pk_mov_b32 v[0:1], s[16:17], s[16:17] op_sel:[0,1]
	flat_load_dwordx2 v[18:19], v[0:1] offset:8
.LBB9_2:
	s_mov_b64 s[14:15], src_private_base
	s_and_b64 s[16:17], s[4:5], exec
	s_cselect_b32 s13, s15, s21
	v_mov_b32_e32 v0, 0
	v_mov_b32_e32 v1, s20
	v_cndmask_b32_e64 v0, v1, v0, s[4:5]
	v_mov_b32_e32 v1, s13
	flat_load_dwordx2 v[10:11], v[0:1]
	s_andn2_b64 vcc, exec, s[8:9]
	v_pk_mov_b32 v[12:13], s[22:23], s[22:23] op_sel:[0,1]
	s_cbranch_vccnz .LBB9_4
; %bb.3:
	v_pk_mov_b32 v[0:1], s[20:21], s[20:21] op_sel:[0,1]
	flat_load_dwordx2 v[12:13], v[0:1] offset:8
.LBB9_4:
	s_waitcnt vmcnt(0) lgkmcnt(0)
	v_cmp_eq_f64_e32 vcc, 0, v[16:17]
	v_cmp_eq_f64_e64 s[4:5], 0, v[18:19]
	s_and_b64 s[14:15], vcc, s[4:5]
	s_mov_b64 s[4:5], -1
	s_and_saveexec_b64 s[8:9], s[14:15]
; %bb.5:
	v_cmp_neq_f64_e32 vcc, 1.0, v[10:11]
	v_cmp_neq_f64_e64 s[4:5], 0, v[12:13]
	s_or_b64 s[4:5], vcc, s[4:5]
	s_orn2_b64 s[4:5], s[4:5], exec
; %bb.6:
	s_or_b64 exec, exec, s[8:9]
	s_and_saveexec_b64 s[8:9], s[4:5]
	s_cbranch_execz .LBB9_27
; %bb.7:
	s_load_dwordx4 s[36:39], s[6:7], 0x20
	v_lshl_or_b32 v0, s10, 8, v2
	v_lshrrev_b32_e32 v8, 3, v0
	s_waitcnt lgkmcnt(0)
	v_cmp_gt_i32_e32 vcc, s37, v8
	s_and_b64 exec, exec, vcc
	s_cbranch_execz .LBB9_27
; %bb.8:
	s_load_dwordx16 s[16:31], s[6:7], 0x30
	s_ashr_i32 s13, s12, 31
	v_lshlrev_b32_e32 v0, 2, v8
	s_load_dwordx2 s[14:15], s[6:7], 0x88
	v_and_b32_e32 v26, 7, v2
	s_waitcnt lgkmcnt(0)
	s_mul_i32 s5, s12, s17
	s_mul_hi_u32 s8, s12, s16
	s_mul_i32 s9, s13, s16
	s_add_i32 s5, s8, s5
	s_mul_i32 s4, s12, s16
	s_add_i32 s5, s5, s9
	s_lshl_b64 s[4:5], s[4:5], 2
	s_add_u32 s4, s20, s4
	s_addc_u32 s5, s21, s5
	global_load_dwordx2 v[0:1], v0, s[4:5]
	v_pk_mov_b32 v[20:21], 0, 0
	v_lshl_or_b32 v14, s11, 3, v26
	v_mov_b32_e32 v9, 0
	v_ashrrev_i32_e32 v15, 31, v14
	v_pk_mov_b32 v[24:25], v[20:21], v[20:21] op_sel:[0,1]
	s_waitcnt vmcnt(0)
	v_cmp_lt_i32_e32 vcc, v0, v1
	s_and_saveexec_b64 s[16:17], vcc
	s_cbranch_execz .LBB9_16
; %bb.9:
	s_bitcmp1_b32 s33, 8
	v_subrev_u32_e32 v27, s15, v1
	s_cselect_b64 vcc, -1, 0
	s_bitcmp1_b32 s36, 16
	v_subrev_u32_e32 v28, s15, v0
	v_mad_u64_u32 v[0:1], s[8:9], v14, s28, 0
	s_mul_i32 s10, s12, s31
	s_mul_hi_u32 s11, s12, s30
	s_cselect_b64 s[4:5], -1, 0
	s_mul_i32 s8, s12, s19
	s_mul_hi_u32 s9, s12, s18
	s_add_i32 s10, s11, s10
	s_mul_i32 s11, s13, s30
	s_add_i32 s8, s9, s8
	s_mul_i32 s9, s13, s18
	;; [unrolled: 2-line block ×3, first 2 shown]
	v_mul_lo_u32 v3, v15, s28
	v_mul_lo_u32 v4, v14, s29
	s_add_i32 s28, s8, s9
	s_lshl_b64 s[10:11], s[10:11], 4
	v_add3_u32 v1, v1, v4, v3
	s_add_u32 s10, s10, s26
	v_lshrrev_b32_e32 v2, 3, v2
	v_mov_b32_e32 v3, 0x1000
	v_lshlrev_b64 v[0:1], 4, v[0:1]
	s_addc_u32 s11, s11, s27
	v_lshl_or_b32 v29, v2, 5, v3
	v_lshlrev_b32_e32 v31, 7, v2
	v_mov_b32_e32 v2, s11
	v_add_co_u32_e64 v33, s[10:11], s10, v0
	v_pk_mov_b32 v[22:23], 0, 0
	v_lshl_or_b32 v30, v26, 2, v29
	v_lshl_or_b32 v32, v26, 4, v31
	s_mul_i32 s29, s12, s18
	v_cmp_gt_i32_e64 s[8:9], s38, v14
	v_addc_co_u32_e64 v34, s[10:11], v2, v1, s[10:11]
	s_mov_b64 s[18:19], 0
	v_pk_mov_b32 v[20:21], v[22:23], v[22:23] op_sel:[0,1]
	v_pk_mov_b32 v[24:25], v[22:23], v[22:23] op_sel:[0,1]
	s_branch .LBB9_11
.LBB9_10:                               ;   in Loop: Header=BB9_11 Depth=1
	s_or_b64 exec, exec, s[20:21]
	v_add_u32_e32 v28, 8, v28
	v_cmp_ge_i32_e64 s[10:11], v28, v27
	s_or_b64 s[18:19], s[10:11], s[18:19]
	s_andn2_b64 exec, exec, s[18:19]
	s_cbranch_execz .LBB9_15
.LBB9_11:                               ; =>This Inner Loop Header: Depth=1
	v_add_u32_e32 v5, v26, v28
	v_cmp_lt_i32_e64 s[10:11], v5, v27
	v_mov_b32_e32 v4, 0
	v_pk_mov_b32 v[0:1], v[22:23], v[22:23] op_sel:[0,1]
	v_pk_mov_b32 v[2:3], v[22:23], v[22:23] op_sel:[0,1]
	s_barrier
	s_and_saveexec_b64 s[20:21], s[10:11]
	s_cbranch_execz .LBB9_13
; %bb.12:                               ;   in Loop: Header=BB9_11 Depth=1
	v_ashrrev_i32_e32 v1, 31, v5
	v_mov_b32_e32 v2, s28
	v_add_co_u32_e64 v0, s[10:11], s29, v5
	v_addc_co_u32_e64 v1, s[10:11], v2, v1, s[10:11]
	v_lshlrev_b64 v[2:3], 2, v[0:1]
	v_mov_b32_e32 v4, s23
	v_add_co_u32_e64 v2, s[10:11], s22, v2
	v_addc_co_u32_e64 v3, s[10:11], v4, v3, s[10:11]
	v_lshlrev_b64 v[0:1], 4, v[0:1]
	global_load_dword v4, v[2:3], off
	v_mov_b32_e32 v2, s25
	v_add_co_u32_e64 v0, s[10:11], s24, v0
	v_addc_co_u32_e64 v1, s[10:11], v2, v1, s[10:11]
	global_load_dwordx4 v[0:3], v[0:1], off
	s_waitcnt vmcnt(1)
	v_subrev_u32_e32 v4, s15, v4
	s_waitcnt vmcnt(0)
	v_xor_b32_e32 v5, 0x80000000, v3
	v_cndmask_b32_e32 v3, v3, v5, vcc
.LBB9_13:                               ;   in Loop: Header=BB9_11 Depth=1
	s_or_b64 exec, exec, s[20:21]
	ds_write_b32 v30, v4
	ds_write_b128 v32, v[0:3]
	s_waitcnt lgkmcnt(0)
	s_barrier
	s_and_saveexec_b64 s[20:21], s[8:9]
	s_cbranch_execz .LBB9_10
; %bb.14:                               ;   in Loop: Header=BB9_11 Depth=1
	ds_read_b128 v[36:39], v29
	ds_read_b128 v[40:43], v29 offset:16
	s_waitcnt lgkmcnt(1)
	v_ashrrev_i32_e32 v1, 31, v36
	v_mov_b32_e32 v0, v36
	v_lshlrev_b64 v[0:1], 4, v[0:1]
	v_add_co_u32_e64 v44, s[10:11], v33, v0
	v_addc_co_u32_e64 v45, s[10:11], v34, v1, s[10:11]
	v_ashrrev_i32_e32 v1, 31, v37
	v_mov_b32_e32 v0, v37
	v_lshlrev_b64 v[0:1], 4, v[0:1]
	v_add_co_u32_e64 v36, s[10:11], v33, v0
	v_addc_co_u32_e64 v37, s[10:11], v34, v1, s[10:11]
	global_load_dwordx4 v[4:7], v[44:45], off
	global_load_dwordx4 v[0:3], v[36:37], off
	v_ashrrev_i32_e32 v37, 31, v38
	v_mov_b32_e32 v36, v38
	v_lshlrev_b64 v[36:37], 4, v[36:37]
	v_add_co_u32_e64 v48, s[10:11], v33, v36
	v_addc_co_u32_e64 v49, s[10:11], v34, v37, s[10:11]
	v_ashrrev_i32_e32 v37, 31, v39
	v_mov_b32_e32 v36, v39
	v_lshlrev_b64 v[36:37], 4, v[36:37]
	v_add_co_u32_e64 v50, s[10:11], v33, v36
	v_addc_co_u32_e64 v51, s[10:11], v34, v37, s[10:11]
	global_load_dwordx4 v[36:39], v[48:49], off
	global_load_dwordx4 v[44:47], v[50:51], off
	s_waitcnt lgkmcnt(0)
	v_ashrrev_i32_e32 v49, 31, v40
	v_mov_b32_e32 v48, v40
	v_lshlrev_b64 v[48:49], 4, v[48:49]
	v_add_co_u32_e64 v48, s[10:11], v33, v48
	v_ashrrev_i32_e32 v53, 31, v41
	v_mov_b32_e32 v52, v41
	v_addc_co_u32_e64 v49, s[10:11], v34, v49, s[10:11]
	v_lshlrev_b64 v[40:41], 4, v[52:53]
	global_load_dwordx4 v[48:51], v[48:49], off
	v_add_co_u32_e64 v40, s[10:11], v33, v40
	v_addc_co_u32_e64 v41, s[10:11], v34, v41, s[10:11]
	global_load_dwordx4 v[52:55], v[40:41], off
	v_ashrrev_i32_e32 v41, 31, v42
	v_mov_b32_e32 v40, v42
	v_lshlrev_b64 v[40:41], 4, v[40:41]
	v_add_co_u32_e64 v40, s[10:11], v33, v40
	v_addc_co_u32_e64 v41, s[10:11], v34, v41, s[10:11]
	global_load_dwordx4 v[56:59], v[40:41], off
	v_ashrrev_i32_e32 v41, 31, v43
	v_mov_b32_e32 v40, v43
	v_lshlrev_b64 v[40:41], 4, v[40:41]
	v_add_co_u32_e64 v40, s[10:11], v33, v40
	v_addc_co_u32_e64 v41, s[10:11], v34, v41, s[10:11]
	global_load_dwordx4 v[40:43], v[40:41], off
	ds_read_b128 v[60:63], v31
	ds_read_b128 v[64:67], v31 offset:16
	ds_read_b128 v[68:71], v31 offset:32
	;; [unrolled: 1-line block ×5, first 2 shown]
	s_waitcnt vmcnt(7)
	v_xor_b32_e32 v35, 0x80000000, v7
	s_waitcnt lgkmcnt(5)
	v_fmac_f64_e32 v[24:25], v[60:61], v[4:5]
	v_fmac_f64_e32 v[20:21], v[62:63], v[4:5]
	s_waitcnt vmcnt(6)
	v_xor_b32_e32 v4, 0x80000000, v3
	v_cndmask_b32_e64 v7, v7, v35, s[4:5]
	v_cndmask_b32_e64 v3, v3, v4, s[4:5]
	v_fmac_f64_e32 v[20:21], v[60:61], v[6:7]
	s_waitcnt lgkmcnt(4)
	v_fmac_f64_e32 v[20:21], v[66:67], v[0:1]
	v_fmac_f64_e32 v[20:21], v[64:65], v[2:3]
	s_waitcnt vmcnt(5)
	v_xor_b32_e32 v5, 0x80000000, v39
	v_cndmask_b32_e64 v39, v39, v5, s[4:5]
	v_fma_f64 v[4:5], -v[62:63], v[6:7], v[24:25]
	v_fmac_f64_e32 v[4:5], v[64:65], v[0:1]
	v_fma_f64 v[0:1], -v[66:67], v[2:3], v[4:5]
	s_waitcnt lgkmcnt(3)
	v_fmac_f64_e32 v[0:1], v[68:69], v[36:37]
	s_waitcnt vmcnt(4)
	v_xor_b32_e32 v84, 0x80000000, v47
	v_fma_f64 v[0:1], -v[70:71], v[38:39], v[0:1]
	v_cndmask_b32_e64 v47, v47, v84, s[4:5]
	s_waitcnt lgkmcnt(2)
	v_fmac_f64_e32 v[0:1], v[72:73], v[44:45]
	v_fma_f64 v[0:1], -v[74:75], v[46:47], v[0:1]
	v_fmac_f64_e32 v[20:21], v[70:71], v[36:37]
	s_waitcnt vmcnt(3)
	v_xor_b32_e32 v85, 0x80000000, v51
	v_cndmask_b32_e64 v51, v51, v85, s[4:5]
	s_waitcnt lgkmcnt(1)
	v_fmac_f64_e32 v[0:1], v[76:77], v[48:49]
	v_fmac_f64_e32 v[20:21], v[68:69], v[38:39]
	v_fma_f64 v[0:1], -v[78:79], v[50:51], v[0:1]
	s_waitcnt vmcnt(2)
	v_xor_b32_e32 v2, 0x80000000, v55
	v_fmac_f64_e32 v[20:21], v[74:75], v[44:45]
	v_cndmask_b32_e64 v55, v55, v2, s[4:5]
	s_waitcnt lgkmcnt(0)
	v_fmac_f64_e32 v[0:1], v[80:81], v[52:53]
	v_fmac_f64_e32 v[20:21], v[72:73], v[46:47]
	v_fma_f64 v[24:25], -v[82:83], v[54:55], v[0:1]
	ds_read_b128 v[0:3], v31 offset:96
	ds_read_b128 v[4:7], v31 offset:112
	v_fmac_f64_e32 v[20:21], v[78:79], v[48:49]
	v_fmac_f64_e32 v[20:21], v[76:77], v[50:51]
	;; [unrolled: 1-line block ×4, first 2 shown]
	s_waitcnt vmcnt(1)
	v_xor_b32_e32 v35, 0x80000000, v59
	v_cndmask_b32_e64 v59, v59, v35, s[4:5]
	s_waitcnt lgkmcnt(1)
	v_fmac_f64_e32 v[24:25], v[0:1], v[56:57]
	v_fmac_f64_e32 v[20:21], v[2:3], v[56:57]
	v_fma_f64 v[24:25], -v[2:3], v[58:59], v[24:25]
	v_fmac_f64_e32 v[20:21], v[0:1], v[58:59]
	s_waitcnt vmcnt(0)
	v_xor_b32_e32 v0, 0x80000000, v43
	v_cndmask_b32_e64 v43, v43, v0, s[4:5]
	s_waitcnt lgkmcnt(0)
	v_fmac_f64_e32 v[24:25], v[4:5], v[40:41]
	v_fmac_f64_e32 v[20:21], v[6:7], v[40:41]
	v_fma_f64 v[24:25], -v[6:7], v[42:43], v[24:25]
	v_fmac_f64_e32 v[20:21], v[4:5], v[42:43]
	s_branch .LBB9_10
.LBB9_15:
	s_or_b64 exec, exec, s[18:19]
.LBB9_16:
	s_or_b64 exec, exec, s[16:17]
	v_cmp_gt_i32_e32 vcc, s38, v14
	s_and_b64 exec, exec, vcc
	s_cbranch_execz .LBB9_27
; %bb.17:
	s_load_dwordx4 s[8:11], s[6:7], 0x70
	s_load_dwordx2 s[20:21], s[6:7], 0x80
	v_cmp_neq_f64_e32 vcc, 0, v[10:11]
	v_cmp_neq_f64_e64 s[4:5], 0, v[12:13]
	s_or_b64 s[22:23], vcc, s[4:5]
	s_cmp_lg_u32 s14, 1
	v_mul_f64 v[0:1], v[20:21], -v[18:19]
	v_mul_f64 v[2:3], v[16:17], v[20:21]
	s_cselect_b64 s[6:7], -1, 0
	s_waitcnt lgkmcnt(0)
	s_mul_i32 s16, s12, s21
	s_mul_hi_u32 s17, s12, s20
	s_mul_i32 s18, s13, s20
	s_mul_i32 s4, s12, s20
	v_fmac_f64_e32 v[0:1], v[16:17], v[24:25]
	v_fmac_f64_e32 v[2:3], v[18:19], v[24:25]
	s_and_saveexec_b64 s[12:13], s[22:23]
	s_xor_b64 s[12:13], exec, s[12:13]
	s_cbranch_execz .LBB9_22
; %bb.18:
	s_add_i32 s5, s17, s16
	s_add_i32 s5, s5, s18
	s_mov_b64 s[14:15], -1
	s_and_b64 vcc, exec, s[6:7]
	s_cbranch_vccz .LBB9_20
; %bb.19:
	v_mad_u64_u32 v[4:5], s[14:15], v8, s10, 0
	v_mov_b32_e32 v6, v5
	v_mad_u64_u32 v[6:7], s[14:15], v8, s11, v[6:7]
	v_mov_b32_e32 v5, v6
	v_lshlrev_b64 v[4:5], 4, v[4:5]
	v_mov_b32_e32 v6, s9
	v_add_co_u32_e32 v7, vcc, s8, v4
	v_addc_co_u32_e32 v6, vcc, v6, v5, vcc
	v_lshlrev_b64 v[4:5], 4, v[14:15]
	v_add_co_u32_e32 v4, vcc, v7, v4
	v_addc_co_u32_e32 v5, vcc, v6, v5, vcc
	s_lshl_b64 s[14:15], s[4:5], 4
	v_mov_b32_e32 v6, s15
	v_add_co_u32_e32 v20, vcc, s14, v4
	v_addc_co_u32_e32 v21, vcc, v5, v6, vcc
	global_load_dwordx4 v[4:7], v[20:21], off
	s_mov_b64 s[14:15], 0
	s_waitcnt vmcnt(0)
	v_fma_f64 v[16:17], v[10:11], v[4:5], v[0:1]
	v_fma_f64 v[18:19], v[12:13], v[4:5], v[2:3]
	v_fma_f64 v[16:17], -v[12:13], v[6:7], v[16:17]
	v_fmac_f64_e32 v[18:19], v[10:11], v[6:7]
	global_store_dwordx4 v[20:21], v[16:19], off
.LBB9_20:
	s_andn2_b64 vcc, exec, s[14:15]
	s_cbranch_vccnz .LBB9_22
; %bb.21:
	v_mul_lo_u32 v6, v15, s10
	v_mul_lo_u32 v7, v14, s11
	v_mad_u64_u32 v[4:5], s[14:15], v14, s10, 0
	v_add3_u32 v5, v5, v7, v6
	v_lshlrev_b64 v[4:5], 4, v[4:5]
	v_mov_b32_e32 v6, s9
	v_add_co_u32_e32 v7, vcc, s8, v4
	v_addc_co_u32_e32 v6, vcc, v6, v5, vcc
	v_lshlrev_b64 v[4:5], 4, v[8:9]
	v_add_co_u32_e32 v4, vcc, v7, v4
	v_addc_co_u32_e32 v5, vcc, v6, v5, vcc
	s_lshl_b64 s[14:15], s[4:5], 4
	v_mov_b32_e32 v6, s15
	v_add_co_u32_e32 v8, vcc, s14, v4
	v_addc_co_u32_e32 v9, vcc, v5, v6, vcc
	global_load_dwordx4 v[4:7], v[8:9], off
                                        ; implicit-def: $vgpr14_vgpr15
	s_waitcnt vmcnt(0)
	v_fmac_f64_e32 v[0:1], v[10:11], v[4:5]
	v_fmac_f64_e32 v[2:3], v[12:13], v[4:5]
	v_fma_f64 v[0:1], -v[12:13], v[6:7], v[0:1]
	v_fmac_f64_e32 v[2:3], v[10:11], v[6:7]
	global_store_dwordx4 v[8:9], v[0:3], off
                                        ; implicit-def: $vgpr8_vgpr9
                                        ; implicit-def: $vgpr0_vgpr1
.LBB9_22:
	s_andn2_saveexec_b64 s[12:13], s[12:13]
	s_cbranch_execz .LBB9_27
; %bb.23:
	s_add_i32 s5, s17, s16
	s_add_i32 s5, s5, s18
	s_mov_b64 s[12:13], -1
	s_and_b64 vcc, exec, s[6:7]
	s_cbranch_vccz .LBB9_25
; %bb.24:
	v_mad_u64_u32 v[4:5], s[6:7], v8, s10, 0
	v_mov_b32_e32 v6, v5
	v_mad_u64_u32 v[6:7], s[6:7], v8, s11, v[6:7]
	v_mov_b32_e32 v5, v6
	v_lshlrev_b64 v[4:5], 4, v[4:5]
	v_mov_b32_e32 v6, s9
	v_add_co_u32_e32 v7, vcc, s8, v4
	v_addc_co_u32_e32 v6, vcc, v6, v5, vcc
	v_lshlrev_b64 v[4:5], 4, v[14:15]
	v_add_co_u32_e32 v4, vcc, v7, v4
	v_addc_co_u32_e32 v5, vcc, v6, v5, vcc
	s_lshl_b64 s[6:7], s[4:5], 4
	v_mov_b32_e32 v6, s7
	v_add_co_u32_e32 v4, vcc, s6, v4
	v_addc_co_u32_e32 v5, vcc, v5, v6, vcc
	global_store_dwordx4 v[4:5], v[0:3], off
	s_mov_b64 s[12:13], 0
.LBB9_25:
	s_andn2_b64 vcc, exec, s[12:13]
	s_cbranch_vccnz .LBB9_27
; %bb.26:
	v_mul_lo_u32 v6, v15, s10
	v_mul_lo_u32 v7, v14, s11
	v_mad_u64_u32 v[4:5], s[6:7], v14, s10, 0
	v_add3_u32 v5, v5, v7, v6
	v_lshlrev_b64 v[4:5], 4, v[4:5]
	v_mov_b32_e32 v6, s9
	v_add_co_u32_e32 v7, vcc, s8, v4
	v_addc_co_u32_e32 v6, vcc, v6, v5, vcc
	v_lshlrev_b64 v[4:5], 4, v[8:9]
	v_add_co_u32_e32 v4, vcc, v7, v4
	v_addc_co_u32_e32 v5, vcc, v6, v5, vcc
	s_lshl_b64 s[4:5], s[4:5], 4
	v_mov_b32_e32 v6, s5
	v_add_co_u32_e32 v4, vcc, s4, v4
	v_addc_co_u32_e32 v5, vcc, v5, v6, vcc
	global_store_dwordx4 v[4:5], v[0:3], off
.LBB9_27:
	s_endpgm
	.section	.rodata,"a",@progbits
	.p2align	6, 0x0
	.amdhsa_kernel _ZN9rocsparse31csrmmnn_row_split_shared_kernelILj256ELj8E21rocsparse_complex_numIdEiiS2_S2_S2_EEvNS_24const_host_device_scalarIT1_EES5_bbbT3_S6_llPKT2_PKS6_PKT4_PKT5_llPT6_ll16rocsparse_order_21rocsparse_index_base_
		.amdhsa_group_segment_fixed_size 7168
		.amdhsa_private_segment_fixed_size 16
		.amdhsa_kernarg_size 144
		.amdhsa_user_sgpr_count 10
		.amdhsa_user_sgpr_private_segment_buffer 1
		.amdhsa_user_sgpr_dispatch_ptr 1
		.amdhsa_user_sgpr_queue_ptr 0
		.amdhsa_user_sgpr_kernarg_segment_ptr 1
		.amdhsa_user_sgpr_dispatch_id 0
		.amdhsa_user_sgpr_flat_scratch_init 1
		.amdhsa_user_sgpr_kernarg_preload_length 0
		.amdhsa_user_sgpr_kernarg_preload_offset 0
		.amdhsa_user_sgpr_private_segment_size 0
		.amdhsa_uses_dynamic_stack 0
		.amdhsa_system_sgpr_private_segment_wavefront_offset 1
		.amdhsa_system_sgpr_workgroup_id_x 1
		.amdhsa_system_sgpr_workgroup_id_y 1
		.amdhsa_system_sgpr_workgroup_id_z 1
		.amdhsa_system_sgpr_workgroup_info 0
		.amdhsa_system_vgpr_workitem_id 2
		.amdhsa_next_free_vgpr 86
		.amdhsa_next_free_sgpr 40
		.amdhsa_accum_offset 88
		.amdhsa_reserve_vcc 1
		.amdhsa_reserve_flat_scratch 1
		.amdhsa_float_round_mode_32 0
		.amdhsa_float_round_mode_16_64 0
		.amdhsa_float_denorm_mode_32 3
		.amdhsa_float_denorm_mode_16_64 3
		.amdhsa_dx10_clamp 1
		.amdhsa_ieee_mode 1
		.amdhsa_fp16_overflow 0
		.amdhsa_tg_split 0
		.amdhsa_exception_fp_ieee_invalid_op 0
		.amdhsa_exception_fp_denorm_src 0
		.amdhsa_exception_fp_ieee_div_zero 0
		.amdhsa_exception_fp_ieee_overflow 0
		.amdhsa_exception_fp_ieee_underflow 0
		.amdhsa_exception_fp_ieee_inexact 0
		.amdhsa_exception_int_div_zero 0
	.end_amdhsa_kernel
	.section	.text._ZN9rocsparse31csrmmnn_row_split_shared_kernelILj256ELj8E21rocsparse_complex_numIdEiiS2_S2_S2_EEvNS_24const_host_device_scalarIT1_EES5_bbbT3_S6_llPKT2_PKS6_PKT4_PKT5_llPT6_ll16rocsparse_order_21rocsparse_index_base_,"axG",@progbits,_ZN9rocsparse31csrmmnn_row_split_shared_kernelILj256ELj8E21rocsparse_complex_numIdEiiS2_S2_S2_EEvNS_24const_host_device_scalarIT1_EES5_bbbT3_S6_llPKT2_PKS6_PKT4_PKT5_llPT6_ll16rocsparse_order_21rocsparse_index_base_,comdat
.Lfunc_end9:
	.size	_ZN9rocsparse31csrmmnn_row_split_shared_kernelILj256ELj8E21rocsparse_complex_numIdEiiS2_S2_S2_EEvNS_24const_host_device_scalarIT1_EES5_bbbT3_S6_llPKT2_PKS6_PKT4_PKT5_llPT6_ll16rocsparse_order_21rocsparse_index_base_, .Lfunc_end9-_ZN9rocsparse31csrmmnn_row_split_shared_kernelILj256ELj8E21rocsparse_complex_numIdEiiS2_S2_S2_EEvNS_24const_host_device_scalarIT1_EES5_bbbT3_S6_llPKT2_PKS6_PKT4_PKT5_llPT6_ll16rocsparse_order_21rocsparse_index_base_
                                        ; -- End function
	.section	.AMDGPU.csdata,"",@progbits
; Kernel info:
; codeLenInByte = 2348
; NumSgprs: 46
; NumVgprs: 86
; NumAgprs: 0
; TotalNumVgprs: 86
; ScratchSize: 16
; MemoryBound: 0
; FloatMode: 240
; IeeeMode: 1
; LDSByteSize: 7168 bytes/workgroup (compile time only)
; SGPRBlocks: 5
; VGPRBlocks: 10
; NumSGPRsForWavesPerEU: 46
; NumVGPRsForWavesPerEU: 86
; AccumOffset: 88
; Occupancy: 5
; WaveLimiterHint : 1
; COMPUTE_PGM_RSRC2:SCRATCH_EN: 1
; COMPUTE_PGM_RSRC2:USER_SGPR: 10
; COMPUTE_PGM_RSRC2:TRAP_HANDLER: 0
; COMPUTE_PGM_RSRC2:TGID_X_EN: 1
; COMPUTE_PGM_RSRC2:TGID_Y_EN: 1
; COMPUTE_PGM_RSRC2:TGID_Z_EN: 1
; COMPUTE_PGM_RSRC2:TIDIG_COMP_CNT: 2
; COMPUTE_PGM_RSRC3_GFX90A:ACCUM_OFFSET: 21
; COMPUTE_PGM_RSRC3_GFX90A:TG_SPLIT: 0
	.section	.text._ZN9rocsparse31csrmmnn_row_split_shared_kernelILj256ELj8E21rocsparse_complex_numIdEliS2_S2_S2_EEvNS_24const_host_device_scalarIT1_EES5_bbbT3_S6_llPKT2_PKS6_PKT4_PKT5_llPT6_ll16rocsparse_order_21rocsparse_index_base_,"axG",@progbits,_ZN9rocsparse31csrmmnn_row_split_shared_kernelILj256ELj8E21rocsparse_complex_numIdEliS2_S2_S2_EEvNS_24const_host_device_scalarIT1_EES5_bbbT3_S6_llPKT2_PKS6_PKT4_PKT5_llPT6_ll16rocsparse_order_21rocsparse_index_base_,comdat
	.protected	_ZN9rocsparse31csrmmnn_row_split_shared_kernelILj256ELj8E21rocsparse_complex_numIdEliS2_S2_S2_EEvNS_24const_host_device_scalarIT1_EES5_bbbT3_S6_llPKT2_PKS6_PKT4_PKT5_llPT6_ll16rocsparse_order_21rocsparse_index_base_ ; -- Begin function _ZN9rocsparse31csrmmnn_row_split_shared_kernelILj256ELj8E21rocsparse_complex_numIdEliS2_S2_S2_EEvNS_24const_host_device_scalarIT1_EES5_bbbT3_S6_llPKT2_PKS6_PKT4_PKT5_llPT6_ll16rocsparse_order_21rocsparse_index_base_
	.globl	_ZN9rocsparse31csrmmnn_row_split_shared_kernelILj256ELj8E21rocsparse_complex_numIdEliS2_S2_S2_EEvNS_24const_host_device_scalarIT1_EES5_bbbT3_S6_llPKT2_PKS6_PKT4_PKT5_llPT6_ll16rocsparse_order_21rocsparse_index_base_
	.p2align	8
	.type	_ZN9rocsparse31csrmmnn_row_split_shared_kernelILj256ELj8E21rocsparse_complex_numIdEliS2_S2_S2_EEvNS_24const_host_device_scalarIT1_EES5_bbbT3_S6_llPKT2_PKS6_PKT4_PKT5_llPT6_ll16rocsparse_order_21rocsparse_index_base_,@function
_ZN9rocsparse31csrmmnn_row_split_shared_kernelILj256ELj8E21rocsparse_complex_numIdEliS2_S2_S2_EEvNS_24const_host_device_scalarIT1_EES5_bbbT3_S6_llPKT2_PKS6_PKT4_PKT5_llPT6_ll16rocsparse_order_21rocsparse_index_base_: ; @_ZN9rocsparse31csrmmnn_row_split_shared_kernelILj256ELj8E21rocsparse_complex_numIdEliS2_S2_S2_EEvNS_24const_host_device_scalarIT1_EES5_bbbT3_S6_llPKT2_PKS6_PKT4_PKT5_llPT6_ll16rocsparse_order_21rocsparse_index_base_
; %bb.0:
	s_add_u32 flat_scratch_lo, s8, s13
	s_load_dword s14, s[6:7], 0x20
	s_load_dwordx8 s[16:23], s[6:7], 0x0
	s_addc_u32 flat_scratch_hi, s9, 0
	s_add_u32 s0, s0, s13
	s_load_dwordx2 s[24:25], s[4:5], 0x4
	s_addc_u32 s1, s1, 0
	s_waitcnt lgkmcnt(0)
	s_bitcmp1_b32 s14, 0
	s_cselect_b64 s[4:5], -1, 0
	s_mov_b64 s[8:9], src_shared_base
	s_and_b64 vcc, s[4:5], exec
	s_cselect_b32 s8, s9, s17
	s_lshr_b32 s9, s24, 16
	v_and_b32_e32 v17, 0x3ff, v0
	s_mul_i32 s9, s9, s25
	v_mul_lo_u32 v1, s9, v17
	v_bfe_u32 v3, v0, 10, 10
	v_mad_u32_u24 v1, v3, s25, v1
	v_bfe_u32 v0, v0, 20, 10
	v_add_lshl_u32 v3, v1, v0, 3
	v_pk_mov_b32 v[0:1], s[16:17], s[16:17] op_sel:[0,1]
	ds_write_b64 v3, v[0:1] offset:5120
	v_mov_b32_e32 v0, s20
	v_mov_b32_e32 v2, s16
	v_add_u32_e32 v4, 0x1400, v3
	buffer_store_dword v0, off, s[0:3], 0
	v_mov_b32_e32 v0, s21
	buffer_store_dword v0, off, s[0:3], 0 offset:4
	v_cndmask_b32_e64 v0, v2, v4, s[4:5]
	v_mov_b32_e32 v1, s8
	flat_load_dwordx2 v[12:13], v[0:1]
	s_xor_b64 s[8:9], s[4:5], -1
	v_pk_mov_b32 v[14:15], s[18:19], s[18:19] op_sel:[0,1]
	s_cbranch_vccnz .LBB10_2
; %bb.1:
	v_pk_mov_b32 v[0:1], s[16:17], s[16:17] op_sel:[0,1]
	flat_load_dwordx2 v[14:15], v[0:1] offset:8
.LBB10_2:
	s_mov_b64 s[16:17], src_private_base
	s_and_b64 s[18:19], s[4:5], exec
	s_cselect_b32 s13, s17, s21
	v_mov_b32_e32 v0, 0
	v_mov_b32_e32 v1, s20
	v_cndmask_b32_e64 v0, v1, v0, s[4:5]
	v_mov_b32_e32 v1, s13
	flat_load_dwordx2 v[6:7], v[0:1]
	s_andn2_b64 vcc, exec, s[8:9]
	v_pk_mov_b32 v[8:9], s[22:23], s[22:23] op_sel:[0,1]
	s_cbranch_vccnz .LBB10_4
; %bb.3:
	v_pk_mov_b32 v[0:1], s[20:21], s[20:21] op_sel:[0,1]
	flat_load_dwordx2 v[8:9], v[0:1] offset:8
.LBB10_4:
	s_waitcnt vmcnt(0) lgkmcnt(0)
	v_cmp_eq_f64_e32 vcc, 0, v[12:13]
	v_cmp_eq_f64_e64 s[4:5], 0, v[14:15]
	s_and_b64 s[16:17], vcc, s[4:5]
	s_mov_b64 s[4:5], -1
	s_and_saveexec_b64 s[8:9], s[16:17]
; %bb.5:
	v_cmp_neq_f64_e32 vcc, 1.0, v[6:7]
	v_cmp_neq_f64_e64 s[4:5], 0, v[8:9]
	s_or_b64 s[4:5], vcc, s[4:5]
	s_orn2_b64 s[4:5], s[4:5], exec
; %bb.6:
	s_or_b64 exec, exec, s[8:9]
	s_and_saveexec_b64 s[8:9], s[4:5]
	s_cbranch_execz .LBB10_27
; %bb.7:
	s_load_dwordx4 s[36:39], s[6:7], 0x20
	v_lshl_or_b32 v0, s10, 8, v17
	v_lshrrev_b32_e32 v4, 3, v0
	s_waitcnt lgkmcnt(0)
	v_cmp_gt_i32_e32 vcc, s37, v4
	s_and_b64 exec, exec, vcc
	s_cbranch_execz .LBB10_27
; %bb.8:
	s_load_dwordx16 s[16:31], s[6:7], 0x30
	s_ashr_i32 s13, s12, 31
	v_lshlrev_b32_e32 v0, 3, v4
	v_and_b32_e32 v16, 7, v17
	v_pk_mov_b32 v[22:23], 0, 0
	s_waitcnt lgkmcnt(0)
	s_mul_i32 s5, s12, s17
	s_mul_hi_u32 s8, s12, s16
	s_mul_i32 s9, s13, s16
	s_add_i32 s5, s8, s5
	s_mul_i32 s4, s12, s16
	s_add_i32 s5, s5, s9
	s_lshl_b64 s[4:5], s[4:5], 3
	s_add_u32 s4, s20, s4
	s_addc_u32 s5, s21, s5
	global_load_dwordx4 v[0:3], v0, s[4:5]
	s_load_dwordx2 s[16:17], s[6:7], 0x88
	v_lshl_or_b32 v10, s11, 3, v16
	v_mov_b32_e32 v5, 0
	v_ashrrev_i32_e32 v11, 31, v10
	v_pk_mov_b32 v[30:31], v[22:23], v[22:23] op_sel:[0,1]
	s_waitcnt vmcnt(0)
	v_cmp_lt_i64_e32 vcc, v[0:1], v[2:3]
	s_and_saveexec_b64 s[20:21], vcc
	s_cbranch_execz .LBB10_16
; %bb.9:
	s_bitcmp1_b32 s14, 8
	s_cselect_b64 s[4:5], -1, 0
	s_bitcmp1_b32 s36, 16
	s_mul_i32 s14, s12, s31
	s_mul_hi_u32 s15, s12, s30
	s_waitcnt lgkmcnt(0)
	s_mov_b32 s33, s17
	s_cselect_b64 s[8:9], -1, 0
	s_add_i32 s14, s15, s14
	s_mul_i32 s15, s13, s30
	v_subrev_co_u32_e32 v18, vcc, s33, v2
	s_add_i32 s15, s14, s15
	s_mul_i32 s14, s12, s30
	v_subbrev_co_u32_e32 v19, vcc, 0, v3, vcc
	v_lshrrev_b32_e32 v22, 3, v17
	v_mul_lo_u32 v17, v11, s28
	v_mul_lo_u32 v23, v10, s29
	v_mad_u64_u32 v[2:3], s[10:11], v10, s28, 0
	s_lshl_b64 s[14:15], s[14:15], 4
	v_subrev_co_u32_e32 v20, vcc, s33, v0
	v_add3_u32 v3, v3, v23, v17
	s_add_u32 s14, s14, s26
	v_subbrev_co_u32_e32 v21, vcc, 0, v1, vcc
	v_mov_b32_e32 v17, 0x1000
	v_lshlrev_b64 v[2:3], 4, v[2:3]
	s_addc_u32 s15, s15, s27
	v_lshl_or_b32 v17, v22, 5, v17
	v_lshlrev_b32_e32 v33, 7, v22
	v_mov_b32_e32 v22, s15
	v_add_co_u32_e32 v35, vcc, s14, v2
	s_mul_i32 s14, s13, s18
	s_mul_i32 s15, s12, s19
	v_mov_b32_e32 v2, s18
	v_addc_co_u32_e32 v36, vcc, v22, v3, vcc
	s_add_i32 s19, s15, s14
	v_mad_u64_u32 v[0:1], s[14:15], s12, v2, v[0:1]
	v_add_u32_e32 v1, s19, v1
	v_add_co_u32_e32 v0, vcc, v0, v16
	v_addc_co_u32_e32 v1, vcc, 0, v1, vcc
	v_subrev_co_u32_e32 v0, vcc, s33, v0
	v_subbrev_co_u32_e32 v1, vcc, 0, v1, vcc
	v_lshlrev_b64 v[2:3], 2, v[0:1]
	v_mov_b32_e32 v22, s23
	v_add_co_u32_e32 v24, vcc, s22, v2
	v_addc_co_u32_e32 v25, vcc, v22, v3, vcc
	v_lshlrev_b64 v[0:1], 4, v[0:1]
	v_mov_b32_e32 v2, s25
	v_add_co_u32_e32 v0, vcc, s24, v0
	v_addc_co_u32_e32 v1, vcc, v1, v2, vcc
	v_add_co_u32_e32 v26, vcc, 8, v0
	v_pk_mov_b32 v[28:29], 0, 0
	v_lshl_or_b32 v32, v16, 2, v17
	v_lshl_or_b32 v34, v16, 4, v33
	v_cmp_gt_i32_e64 s[10:11], s38, v10
	v_addc_co_u32_e32 v27, vcc, 0, v1, vcc
	s_mov_b64 s[18:19], 0
	v_pk_mov_b32 v[22:23], v[28:29], v[28:29] op_sel:[0,1]
	v_pk_mov_b32 v[30:31], v[28:29], v[28:29] op_sel:[0,1]
	s_branch .LBB10_11
.LBB10_10:                              ;   in Loop: Header=BB10_11 Depth=1
	s_or_b64 exec, exec, s[14:15]
	v_add_co_u32_e32 v20, vcc, 8, v20
	v_addc_co_u32_e32 v21, vcc, 0, v21, vcc
	v_add_co_u32_e32 v24, vcc, 32, v24
	v_addc_co_u32_e32 v25, vcc, 0, v25, vcc
	v_add_co_u32_e32 v26, vcc, 0x80, v26
	v_cmp_ge_i64_e64 s[14:15], v[20:21], v[18:19]
	s_or_b64 s[18:19], s[14:15], s[18:19]
	v_addc_co_u32_e32 v27, vcc, 0, v27, vcc
	s_andn2_b64 exec, exec, s[18:19]
	s_cbranch_execz .LBB10_15
.LBB10_11:                              ; =>This Inner Loop Header: Depth=1
	v_add_co_u32_e32 v0, vcc, v16, v20
	v_addc_co_u32_e32 v1, vcc, 0, v21, vcc
	v_cmp_lt_i64_e32 vcc, v[0:1], v[18:19]
	v_mov_b32_e32 v37, 0
	v_pk_mov_b32 v[0:1], v[28:29], v[28:29] op_sel:[0,1]
	v_pk_mov_b32 v[2:3], v[28:29], v[28:29] op_sel:[0,1]
	s_barrier
	s_and_saveexec_b64 s[14:15], vcc
	s_cbranch_execz .LBB10_13
; %bb.12:                               ;   in Loop: Header=BB10_11 Depth=1
	global_load_dword v37, v[24:25], off
	global_load_dwordx4 v[0:3], v[26:27], off offset:-8
	s_waitcnt vmcnt(1)
	v_subrev_u32_e32 v37, s17, v37
	s_waitcnt vmcnt(0)
	v_xor_b32_e32 v38, 0x80000000, v3
	v_cndmask_b32_e64 v3, v3, v38, s[4:5]
.LBB10_13:                              ;   in Loop: Header=BB10_11 Depth=1
	s_or_b64 exec, exec, s[14:15]
	ds_write_b32 v32, v37
	ds_write_b128 v34, v[0:3]
	s_waitcnt lgkmcnt(0)
	s_barrier
	s_and_saveexec_b64 s[14:15], s[10:11]
	s_cbranch_execz .LBB10_10
; %bb.14:                               ;   in Loop: Header=BB10_11 Depth=1
	ds_read_b128 v[0:3], v17
	ds_read_b128 v[38:41], v17 offset:16
	s_waitcnt lgkmcnt(1)
	v_ashrrev_i32_e32 v43, 31, v0
	v_mov_b32_e32 v42, v0
	v_lshlrev_b64 v[42:43], 4, v[42:43]
	v_add_co_u32_e32 v50, vcc, v35, v42
	v_addc_co_u32_e32 v51, vcc, v36, v43, vcc
	v_ashrrev_i32_e32 v43, 31, v1
	v_mov_b32_e32 v42, v1
	v_lshlrev_b64 v[0:1], 4, v[42:43]
	v_add_co_u32_e32 v0, vcc, v35, v0
	v_addc_co_u32_e32 v1, vcc, v36, v1, vcc
	global_load_dwordx4 v[42:45], v[50:51], off
	global_load_dwordx4 v[46:49], v[0:1], off
	v_ashrrev_i32_e32 v1, 31, v2
	v_mov_b32_e32 v0, v2
	v_lshlrev_b64 v[0:1], 4, v[0:1]
	v_add_co_u32_e32 v54, vcc, v35, v0
	v_addc_co_u32_e32 v55, vcc, v36, v1, vcc
	v_ashrrev_i32_e32 v1, 31, v3
	v_mov_b32_e32 v0, v3
	v_lshlrev_b64 v[0:1], 4, v[0:1]
	v_add_co_u32_e32 v56, vcc, v35, v0
	v_addc_co_u32_e32 v57, vcc, v36, v1, vcc
	global_load_dwordx4 v[0:3], v[54:55], off
	global_load_dwordx4 v[50:53], v[56:57], off
	s_waitcnt lgkmcnt(0)
	v_ashrrev_i32_e32 v55, 31, v38
	v_mov_b32_e32 v54, v38
	v_lshlrev_b64 v[54:55], 4, v[54:55]
	v_add_co_u32_e32 v54, vcc, v35, v54
	v_ashrrev_i32_e32 v59, 31, v39
	v_mov_b32_e32 v58, v39
	v_addc_co_u32_e32 v55, vcc, v36, v55, vcc
	v_lshlrev_b64 v[38:39], 4, v[58:59]
	global_load_dwordx4 v[54:57], v[54:55], off
	v_add_co_u32_e32 v38, vcc, v35, v38
	v_addc_co_u32_e32 v39, vcc, v36, v39, vcc
	global_load_dwordx4 v[58:61], v[38:39], off
	v_ashrrev_i32_e32 v39, 31, v40
	v_mov_b32_e32 v38, v40
	v_lshlrev_b64 v[38:39], 4, v[38:39]
	v_add_co_u32_e32 v38, vcc, v35, v38
	v_addc_co_u32_e32 v39, vcc, v36, v39, vcc
	global_load_dwordx4 v[62:65], v[38:39], off
	v_ashrrev_i32_e32 v39, 31, v41
	v_mov_b32_e32 v38, v41
	v_lshlrev_b64 v[38:39], 4, v[38:39]
	v_add_co_u32_e32 v38, vcc, v35, v38
	v_addc_co_u32_e32 v39, vcc, v36, v39, vcc
	global_load_dwordx4 v[38:41], v[38:39], off
	ds_read_b128 v[66:69], v33
	ds_read_b128 v[70:73], v33 offset:16
	ds_read_b128 v[74:77], v33 offset:32
	;; [unrolled: 1-line block ×5, first 2 shown]
	s_waitcnt vmcnt(7)
	v_xor_b32_e32 v37, 0x80000000, v45
	s_waitcnt lgkmcnt(5)
	v_fmac_f64_e32 v[30:31], v[66:67], v[42:43]
	v_cndmask_b32_e64 v45, v45, v37, s[8:9]
	v_fmac_f64_e32 v[22:23], v[68:69], v[42:43]
	s_waitcnt vmcnt(6)
	v_xor_b32_e32 v42, 0x80000000, v49
	v_fma_f64 v[30:31], -v[68:69], v[44:45], v[30:31]
	v_cndmask_b32_e64 v49, v49, v42, s[8:9]
	v_fmac_f64_e32 v[22:23], v[66:67], v[44:45]
	s_waitcnt lgkmcnt(4)
	v_fmac_f64_e32 v[30:31], v[70:71], v[46:47]
	v_fmac_f64_e32 v[22:23], v[72:73], v[46:47]
	v_fma_f64 v[30:31], -v[72:73], v[48:49], v[30:31]
	v_fmac_f64_e32 v[22:23], v[70:71], v[48:49]
	s_waitcnt vmcnt(5)
	v_xor_b32_e32 v43, 0x80000000, v3
	v_cndmask_b32_e64 v3, v3, v43, s[8:9]
	s_waitcnt lgkmcnt(3)
	v_fmac_f64_e32 v[30:31], v[74:75], v[0:1]
	s_waitcnt vmcnt(4)
	v_xor_b32_e32 v90, 0x80000000, v53
	v_fmac_f64_e32 v[22:23], v[76:77], v[0:1]
	v_fma_f64 v[0:1], -v[76:77], v[2:3], v[30:31]
	v_cndmask_b32_e64 v53, v53, v90, s[8:9]
	s_waitcnt lgkmcnt(2)
	v_fmac_f64_e32 v[0:1], v[78:79], v[50:51]
	v_fma_f64 v[0:1], -v[80:81], v[52:53], v[0:1]
	v_fmac_f64_e32 v[22:23], v[74:75], v[2:3]
	v_fmac_f64_e32 v[22:23], v[80:81], v[50:51]
	;; [unrolled: 1-line block ×3, first 2 shown]
	s_waitcnt vmcnt(3)
	v_xor_b32_e32 v91, 0x80000000, v57
	v_cndmask_b32_e64 v57, v57, v91, s[8:9]
	s_waitcnt lgkmcnt(1)
	v_fmac_f64_e32 v[0:1], v[82:83], v[54:55]
	v_fma_f64 v[0:1], -v[84:85], v[56:57], v[0:1]
	v_fmac_f64_e32 v[22:23], v[84:85], v[54:55]
	s_waitcnt vmcnt(2)
	v_xor_b32_e32 v2, 0x80000000, v61
	v_cndmask_b32_e64 v61, v61, v2, s[8:9]
	s_waitcnt lgkmcnt(0)
	v_fmac_f64_e32 v[0:1], v[86:87], v[58:59]
	v_fma_f64 v[30:31], -v[88:89], v[60:61], v[0:1]
	ds_read_b128 v[0:3], v33 offset:96
	ds_read_b128 v[42:45], v33 offset:112
	v_fmac_f64_e32 v[22:23], v[82:83], v[56:57]
	v_fmac_f64_e32 v[22:23], v[88:89], v[58:59]
	;; [unrolled: 1-line block ×3, first 2 shown]
	s_waitcnt vmcnt(1)
	v_xor_b32_e32 v37, 0x80000000, v65
	v_cndmask_b32_e64 v65, v65, v37, s[8:9]
	s_waitcnt lgkmcnt(1)
	v_fmac_f64_e32 v[30:31], v[0:1], v[62:63]
	v_fmac_f64_e32 v[22:23], v[2:3], v[62:63]
	v_fma_f64 v[30:31], -v[2:3], v[64:65], v[30:31]
	v_fmac_f64_e32 v[22:23], v[0:1], v[64:65]
	s_waitcnt vmcnt(0)
	v_xor_b32_e32 v0, 0x80000000, v41
	v_cndmask_b32_e64 v41, v41, v0, s[8:9]
	s_waitcnt lgkmcnt(0)
	v_fmac_f64_e32 v[30:31], v[42:43], v[38:39]
	v_fmac_f64_e32 v[22:23], v[44:45], v[38:39]
	v_fma_f64 v[30:31], -v[44:45], v[40:41], v[30:31]
	v_fmac_f64_e32 v[22:23], v[42:43], v[40:41]
	s_branch .LBB10_10
.LBB10_15:
	s_or_b64 exec, exec, s[18:19]
.LBB10_16:
	s_or_b64 exec, exec, s[20:21]
	v_cmp_gt_i32_e32 vcc, s38, v10
	s_and_b64 exec, exec, vcc
	s_cbranch_execz .LBB10_27
; %bb.17:
	s_load_dwordx4 s[8:11], s[6:7], 0x70
	s_load_dwordx2 s[14:15], s[6:7], 0x80
	v_cmp_neq_f64_e32 vcc, 0, v[6:7]
	v_cmp_neq_f64_e64 s[4:5], 0, v[8:9]
	s_or_b64 s[20:21], vcc, s[4:5]
	s_waitcnt lgkmcnt(0)
	s_cmp_lg_u32 s16, 1
	v_mul_f64 v[0:1], v[22:23], -v[14:15]
	v_mul_f64 v[2:3], v[12:13], v[22:23]
	s_cselect_b64 s[6:7], -1, 0
	s_mul_i32 s16, s12, s15
	s_mul_hi_u32 s17, s12, s14
	s_mul_i32 s18, s13, s14
	s_mul_i32 s4, s12, s14
	v_fmac_f64_e32 v[0:1], v[12:13], v[30:31]
	v_fmac_f64_e32 v[2:3], v[14:15], v[30:31]
	s_and_saveexec_b64 s[12:13], s[20:21]
	s_xor_b64 s[12:13], exec, s[12:13]
	s_cbranch_execz .LBB10_22
; %bb.18:
	s_add_i32 s5, s17, s16
	s_add_i32 s5, s5, s18
	s_mov_b64 s[14:15], -1
	s_and_b64 vcc, exec, s[6:7]
	s_cbranch_vccz .LBB10_20
; %bb.19:
	v_mad_u64_u32 v[12:13], s[14:15], v4, s10, 0
	v_mov_b32_e32 v14, v13
	v_mad_u64_u32 v[14:15], s[14:15], v4, s11, v[14:15]
	v_mov_b32_e32 v13, v14
	v_lshlrev_b64 v[12:13], 4, v[12:13]
	v_mov_b32_e32 v14, s9
	v_add_co_u32_e32 v15, vcc, s8, v12
	v_addc_co_u32_e32 v14, vcc, v14, v13, vcc
	v_lshlrev_b64 v[12:13], 4, v[10:11]
	v_add_co_u32_e32 v12, vcc, v15, v12
	v_addc_co_u32_e32 v13, vcc, v14, v13, vcc
	s_lshl_b64 s[14:15], s[4:5], 4
	v_mov_b32_e32 v14, s15
	v_add_co_u32_e32 v20, vcc, s14, v12
	v_addc_co_u32_e32 v21, vcc, v13, v14, vcc
	global_load_dwordx4 v[12:15], v[20:21], off
	s_mov_b64 s[14:15], 0
	s_waitcnt vmcnt(0)
	v_fma_f64 v[16:17], v[6:7], v[12:13], v[0:1]
	v_fma_f64 v[18:19], v[8:9], v[12:13], v[2:3]
	v_fma_f64 v[16:17], -v[8:9], v[14:15], v[16:17]
	v_fmac_f64_e32 v[18:19], v[6:7], v[14:15]
	global_store_dwordx4 v[20:21], v[16:19], off
.LBB10_20:
	s_andn2_b64 vcc, exec, s[14:15]
	s_cbranch_vccnz .LBB10_22
; %bb.21:
	v_mul_lo_u32 v12, v11, s10
	v_mul_lo_u32 v13, v10, s11
	v_mad_u64_u32 v[10:11], s[14:15], v10, s10, 0
	v_add3_u32 v11, v11, v13, v12
	v_lshlrev_b64 v[10:11], 4, v[10:11]
	v_mov_b32_e32 v12, s9
	v_add_co_u32_e32 v10, vcc, s8, v10
	v_addc_co_u32_e32 v11, vcc, v12, v11, vcc
	v_lshlrev_b64 v[4:5], 4, v[4:5]
	v_add_co_u32_e32 v4, vcc, v10, v4
	v_addc_co_u32_e32 v5, vcc, v11, v5, vcc
	s_lshl_b64 s[14:15], s[4:5], 4
	v_mov_b32_e32 v10, s15
	v_add_co_u32_e32 v4, vcc, s14, v4
	v_addc_co_u32_e32 v5, vcc, v5, v10, vcc
	global_load_dwordx4 v[10:13], v[4:5], off
	s_waitcnt vmcnt(0)
	v_fmac_f64_e32 v[0:1], v[6:7], v[10:11]
	v_fmac_f64_e32 v[2:3], v[8:9], v[10:11]
	v_fma_f64 v[0:1], -v[8:9], v[12:13], v[0:1]
	v_fmac_f64_e32 v[2:3], v[6:7], v[12:13]
	global_store_dwordx4 v[4:5], v[0:3], off
                                        ; implicit-def: $vgpr10_vgpr11
                                        ; implicit-def: $vgpr4_vgpr5
                                        ; implicit-def: $vgpr0_vgpr1
.LBB10_22:
	s_andn2_saveexec_b64 s[12:13], s[12:13]
	s_cbranch_execz .LBB10_27
; %bb.23:
	s_add_i32 s5, s17, s16
	s_add_i32 s5, s5, s18
	s_mov_b64 s[12:13], -1
	s_and_b64 vcc, exec, s[6:7]
	s_cbranch_vccz .LBB10_25
; %bb.24:
	v_mad_u64_u32 v[6:7], s[6:7], v4, s10, 0
	v_mov_b32_e32 v8, v7
	v_mad_u64_u32 v[8:9], s[6:7], v4, s11, v[8:9]
	v_mov_b32_e32 v7, v8
	v_lshlrev_b64 v[6:7], 4, v[6:7]
	v_mov_b32_e32 v8, s9
	v_add_co_u32_e32 v9, vcc, s8, v6
	v_addc_co_u32_e32 v8, vcc, v8, v7, vcc
	v_lshlrev_b64 v[6:7], 4, v[10:11]
	v_add_co_u32_e32 v6, vcc, v9, v6
	v_addc_co_u32_e32 v7, vcc, v8, v7, vcc
	s_lshl_b64 s[6:7], s[4:5], 4
	v_mov_b32_e32 v8, s7
	v_add_co_u32_e32 v6, vcc, s6, v6
	v_addc_co_u32_e32 v7, vcc, v7, v8, vcc
	global_store_dwordx4 v[6:7], v[0:3], off
	s_mov_b64 s[12:13], 0
.LBB10_25:
	s_andn2_b64 vcc, exec, s[12:13]
	s_cbranch_vccnz .LBB10_27
; %bb.26:
	v_mul_lo_u32 v8, v11, s10
	v_mul_lo_u32 v9, v10, s11
	v_mad_u64_u32 v[6:7], s[6:7], v10, s10, 0
	v_add3_u32 v7, v7, v9, v8
	v_lshlrev_b64 v[6:7], 4, v[6:7]
	v_mov_b32_e32 v8, s9
	v_add_co_u32_e32 v6, vcc, s8, v6
	v_addc_co_u32_e32 v7, vcc, v8, v7, vcc
	v_lshlrev_b64 v[4:5], 4, v[4:5]
	v_add_co_u32_e32 v4, vcc, v6, v4
	v_addc_co_u32_e32 v5, vcc, v7, v5, vcc
	s_lshl_b64 s[4:5], s[4:5], 4
	v_mov_b32_e32 v6, s5
	v_add_co_u32_e32 v4, vcc, s4, v4
	v_addc_co_u32_e32 v5, vcc, v5, v6, vcc
	global_store_dwordx4 v[4:5], v[0:3], off
.LBB10_27:
	s_endpgm
	.section	.rodata,"a",@progbits
	.p2align	6, 0x0
	.amdhsa_kernel _ZN9rocsparse31csrmmnn_row_split_shared_kernelILj256ELj8E21rocsparse_complex_numIdEliS2_S2_S2_EEvNS_24const_host_device_scalarIT1_EES5_bbbT3_S6_llPKT2_PKS6_PKT4_PKT5_llPT6_ll16rocsparse_order_21rocsparse_index_base_
		.amdhsa_group_segment_fixed_size 7168
		.amdhsa_private_segment_fixed_size 16
		.amdhsa_kernarg_size 144
		.amdhsa_user_sgpr_count 10
		.amdhsa_user_sgpr_private_segment_buffer 1
		.amdhsa_user_sgpr_dispatch_ptr 1
		.amdhsa_user_sgpr_queue_ptr 0
		.amdhsa_user_sgpr_kernarg_segment_ptr 1
		.amdhsa_user_sgpr_dispatch_id 0
		.amdhsa_user_sgpr_flat_scratch_init 1
		.amdhsa_user_sgpr_kernarg_preload_length 0
		.amdhsa_user_sgpr_kernarg_preload_offset 0
		.amdhsa_user_sgpr_private_segment_size 0
		.amdhsa_uses_dynamic_stack 0
		.amdhsa_system_sgpr_private_segment_wavefront_offset 1
		.amdhsa_system_sgpr_workgroup_id_x 1
		.amdhsa_system_sgpr_workgroup_id_y 1
		.amdhsa_system_sgpr_workgroup_id_z 1
		.amdhsa_system_sgpr_workgroup_info 0
		.amdhsa_system_vgpr_workitem_id 2
		.amdhsa_next_free_vgpr 92
		.amdhsa_next_free_sgpr 40
		.amdhsa_accum_offset 92
		.amdhsa_reserve_vcc 1
		.amdhsa_reserve_flat_scratch 1
		.amdhsa_float_round_mode_32 0
		.amdhsa_float_round_mode_16_64 0
		.amdhsa_float_denorm_mode_32 3
		.amdhsa_float_denorm_mode_16_64 3
		.amdhsa_dx10_clamp 1
		.amdhsa_ieee_mode 1
		.amdhsa_fp16_overflow 0
		.amdhsa_tg_split 0
		.amdhsa_exception_fp_ieee_invalid_op 0
		.amdhsa_exception_fp_denorm_src 0
		.amdhsa_exception_fp_ieee_div_zero 0
		.amdhsa_exception_fp_ieee_overflow 0
		.amdhsa_exception_fp_ieee_underflow 0
		.amdhsa_exception_fp_ieee_inexact 0
		.amdhsa_exception_int_div_zero 0
	.end_amdhsa_kernel
	.section	.text._ZN9rocsparse31csrmmnn_row_split_shared_kernelILj256ELj8E21rocsparse_complex_numIdEliS2_S2_S2_EEvNS_24const_host_device_scalarIT1_EES5_bbbT3_S6_llPKT2_PKS6_PKT4_PKT5_llPT6_ll16rocsparse_order_21rocsparse_index_base_,"axG",@progbits,_ZN9rocsparse31csrmmnn_row_split_shared_kernelILj256ELj8E21rocsparse_complex_numIdEliS2_S2_S2_EEvNS_24const_host_device_scalarIT1_EES5_bbbT3_S6_llPKT2_PKS6_PKT4_PKT5_llPT6_ll16rocsparse_order_21rocsparse_index_base_,comdat
.Lfunc_end10:
	.size	_ZN9rocsparse31csrmmnn_row_split_shared_kernelILj256ELj8E21rocsparse_complex_numIdEliS2_S2_S2_EEvNS_24const_host_device_scalarIT1_EES5_bbbT3_S6_llPKT2_PKS6_PKT4_PKT5_llPT6_ll16rocsparse_order_21rocsparse_index_base_, .Lfunc_end10-_ZN9rocsparse31csrmmnn_row_split_shared_kernelILj256ELj8E21rocsparse_complex_numIdEliS2_S2_S2_EEvNS_24const_host_device_scalarIT1_EES5_bbbT3_S6_llPKT2_PKS6_PKT4_PKT5_llPT6_ll16rocsparse_order_21rocsparse_index_base_
                                        ; -- End function
	.section	.AMDGPU.csdata,"",@progbits
; Kernel info:
; codeLenInByte = 2308
; NumSgprs: 46
; NumVgprs: 92
; NumAgprs: 0
; TotalNumVgprs: 92
; ScratchSize: 16
; MemoryBound: 1
; FloatMode: 240
; IeeeMode: 1
; LDSByteSize: 7168 bytes/workgroup (compile time only)
; SGPRBlocks: 5
; VGPRBlocks: 11
; NumSGPRsForWavesPerEU: 46
; NumVGPRsForWavesPerEU: 92
; AccumOffset: 92
; Occupancy: 5
; WaveLimiterHint : 1
; COMPUTE_PGM_RSRC2:SCRATCH_EN: 1
; COMPUTE_PGM_RSRC2:USER_SGPR: 10
; COMPUTE_PGM_RSRC2:TRAP_HANDLER: 0
; COMPUTE_PGM_RSRC2:TGID_X_EN: 1
; COMPUTE_PGM_RSRC2:TGID_Y_EN: 1
; COMPUTE_PGM_RSRC2:TGID_Z_EN: 1
; COMPUTE_PGM_RSRC2:TIDIG_COMP_CNT: 2
; COMPUTE_PGM_RSRC3_GFX90A:ACCUM_OFFSET: 22
; COMPUTE_PGM_RSRC3_GFX90A:TG_SPLIT: 0
	.section	.text._ZN9rocsparse31csrmmnn_row_split_shared_kernelILj256ELj8E21rocsparse_complex_numIdEllS2_S2_S2_EEvNS_24const_host_device_scalarIT1_EES5_bbbT3_S6_llPKT2_PKS6_PKT4_PKT5_llPT6_ll16rocsparse_order_21rocsparse_index_base_,"axG",@progbits,_ZN9rocsparse31csrmmnn_row_split_shared_kernelILj256ELj8E21rocsparse_complex_numIdEllS2_S2_S2_EEvNS_24const_host_device_scalarIT1_EES5_bbbT3_S6_llPKT2_PKS6_PKT4_PKT5_llPT6_ll16rocsparse_order_21rocsparse_index_base_,comdat
	.protected	_ZN9rocsparse31csrmmnn_row_split_shared_kernelILj256ELj8E21rocsparse_complex_numIdEllS2_S2_S2_EEvNS_24const_host_device_scalarIT1_EES5_bbbT3_S6_llPKT2_PKS6_PKT4_PKT5_llPT6_ll16rocsparse_order_21rocsparse_index_base_ ; -- Begin function _ZN9rocsparse31csrmmnn_row_split_shared_kernelILj256ELj8E21rocsparse_complex_numIdEllS2_S2_S2_EEvNS_24const_host_device_scalarIT1_EES5_bbbT3_S6_llPKT2_PKS6_PKT4_PKT5_llPT6_ll16rocsparse_order_21rocsparse_index_base_
	.globl	_ZN9rocsparse31csrmmnn_row_split_shared_kernelILj256ELj8E21rocsparse_complex_numIdEllS2_S2_S2_EEvNS_24const_host_device_scalarIT1_EES5_bbbT3_S6_llPKT2_PKS6_PKT4_PKT5_llPT6_ll16rocsparse_order_21rocsparse_index_base_
	.p2align	8
	.type	_ZN9rocsparse31csrmmnn_row_split_shared_kernelILj256ELj8E21rocsparse_complex_numIdEllS2_S2_S2_EEvNS_24const_host_device_scalarIT1_EES5_bbbT3_S6_llPKT2_PKS6_PKT4_PKT5_llPT6_ll16rocsparse_order_21rocsparse_index_base_,@function
_ZN9rocsparse31csrmmnn_row_split_shared_kernelILj256ELj8E21rocsparse_complex_numIdEllS2_S2_S2_EEvNS_24const_host_device_scalarIT1_EES5_bbbT3_S6_llPKT2_PKS6_PKT4_PKT5_llPT6_ll16rocsparse_order_21rocsparse_index_base_: ; @_ZN9rocsparse31csrmmnn_row_split_shared_kernelILj256ELj8E21rocsparse_complex_numIdEllS2_S2_S2_EEvNS_24const_host_device_scalarIT1_EES5_bbbT3_S6_llPKT2_PKS6_PKT4_PKT5_llPT6_ll16rocsparse_order_21rocsparse_index_base_
; %bb.0:
	s_add_u32 flat_scratch_lo, s8, s13
	s_load_dword s33, s[6:7], 0x20
	s_load_dwordx8 s[16:23], s[6:7], 0x0
	s_addc_u32 flat_scratch_hi, s9, 0
	s_add_u32 s0, s0, s13
	s_load_dwordx2 s[14:15], s[4:5], 0x4
	s_addc_u32 s1, s1, 0
	s_waitcnt lgkmcnt(0)
	s_bitcmp1_b32 s33, 0
	s_cselect_b64 s[4:5], -1, 0
	s_mov_b64 s[8:9], src_shared_base
	s_and_b64 vcc, s[4:5], exec
	s_cselect_b32 s8, s9, s17
	s_lshr_b32 s9, s14, 16
	v_and_b32_e32 v4, 0x3ff, v0
	s_mul_i32 s9, s9, s15
	v_mul_lo_u32 v1, s9, v4
	v_bfe_u32 v3, v0, 10, 10
	v_mad_u32_u24 v1, v3, s15, v1
	v_bfe_u32 v0, v0, 20, 10
	v_add_lshl_u32 v3, v1, v0, 3
	v_pk_mov_b32 v[0:1], s[16:17], s[16:17] op_sel:[0,1]
	ds_write_b64 v3, v[0:1] offset:6144
	v_mov_b32_e32 v0, s20
	v_mov_b32_e32 v2, s16
	v_add_u32_e32 v5, 0x1800, v3
	buffer_store_dword v0, off, s[0:3], 0
	v_mov_b32_e32 v0, s21
	buffer_store_dword v0, off, s[0:3], 0 offset:4
	v_cndmask_b32_e64 v0, v2, v5, s[4:5]
	v_mov_b32_e32 v1, s8
	flat_load_dwordx2 v[20:21], v[0:1]
	s_xor_b64 s[8:9], s[4:5], -1
	v_pk_mov_b32 v[22:23], s[18:19], s[18:19] op_sel:[0,1]
	s_cbranch_vccnz .LBB11_2
; %bb.1:
	v_pk_mov_b32 v[0:1], s[16:17], s[16:17] op_sel:[0,1]
	flat_load_dwordx2 v[22:23], v[0:1] offset:8
.LBB11_2:
	s_mov_b64 s[14:15], src_private_base
	s_and_b64 s[16:17], s[4:5], exec
	s_cselect_b32 s13, s15, s21
	v_mov_b32_e32 v0, 0
	v_mov_b32_e32 v1, s20
	v_cndmask_b32_e64 v0, v1, v0, s[4:5]
	v_mov_b32_e32 v1, s13
	flat_load_dwordx2 v[14:15], v[0:1]
	s_andn2_b64 vcc, exec, s[8:9]
	v_pk_mov_b32 v[16:17], s[22:23], s[22:23] op_sel:[0,1]
	s_cbranch_vccnz .LBB11_4
; %bb.3:
	v_pk_mov_b32 v[0:1], s[20:21], s[20:21] op_sel:[0,1]
	flat_load_dwordx2 v[16:17], v[0:1] offset:8
.LBB11_4:
	s_waitcnt vmcnt(0) lgkmcnt(0)
	v_cmp_eq_f64_e32 vcc, 0, v[20:21]
	v_cmp_eq_f64_e64 s[4:5], 0, v[22:23]
	s_and_b64 s[14:15], vcc, s[4:5]
	s_mov_b64 s[4:5], -1
	s_and_saveexec_b64 s[8:9], s[14:15]
; %bb.5:
	v_cmp_neq_f64_e32 vcc, 1.0, v[14:15]
	v_cmp_neq_f64_e64 s[4:5], 0, v[16:17]
	s_or_b64 s[4:5], vcc, s[4:5]
	s_orn2_b64 s[4:5], s[4:5], exec
; %bb.6:
	s_or_b64 exec, exec, s[8:9]
	s_and_saveexec_b64 s[8:9], s[4:5]
	s_cbranch_execz .LBB11_27
; %bb.7:
	s_load_dwordx16 s[16:31], s[6:7], 0x28
	v_lshl_or_b32 v0, s10, 8, v4
	v_lshrrev_b32_e32 v12, 3, v0
	v_mov_b32_e32 v13, 0
	s_waitcnt lgkmcnt(0)
	v_cmp_gt_i64_e32 vcc, s[16:17], v[12:13]
	s_and_b64 exec, exec, vcc
	s_cbranch_execz .LBB11_27
; %bb.8:
	s_mul_i32 s4, s12, s21
	s_mul_hi_u32 s5, s12, s20
	s_add_i32 s5, s5, s4
	s_mul_i32 s4, s12, s20
	s_lshl_b64 s[4:5], s[4:5], 3
	s_add_u32 s4, s24, s4
	s_addc_u32 s5, s25, s5
	v_lshlrev_b32_e32 v0, 3, v12
	global_load_dwordx4 v[0:3], v0, s[4:5]
	s_load_dwordx8 s[36:43], s[6:7], 0x68
	s_load_dwordx4 s[44:47], s[6:7], 0x88
	v_and_b32_e32 v24, 7, v4
	v_pk_mov_b32 v[30:31], 0, 0
	s_mov_b32 s13, 0
	v_mov_b32_e32 v19, v13
	v_lshl_or_b32 v18, s11, 3, v24
	v_pk_mov_b32 v[36:37], v[30:31], v[30:31] op_sel:[0,1]
	s_waitcnt vmcnt(0)
	v_cmp_lt_i64_e32 vcc, v[0:1], v[2:3]
	s_and_saveexec_b64 s[14:15], vcc
	s_cbranch_execz .LBB11_16
; %bb.9:
	s_waitcnt lgkmcnt(0)
	s_mov_b32 s20, s47
	v_subrev_co_u32_e32 v26, vcc, s20, v2
	v_subbrev_co_u32_e32 v27, vcc, 0, v3, vcc
	s_bitcmp1_b32 s33, 8
	v_mad_u64_u32 v[2:3], s[8:9], v18, s36, 0
	v_lshrrev_b32_e32 v6, 3, v4
	s_cselect_b64 s[4:5], -1, 0
	s_bitcmp1_b32 s33, 16
	v_mov_b32_e32 v4, v3
	s_mul_i32 s10, s12, s39
	s_mul_hi_u32 s11, s12, s38
	s_cselect_b64 s[6:7], -1, 0
	v_mad_u64_u32 v[4:5], s[8:9], v18, s37, v[4:5]
	s_add_i32 s11, s11, s10
	s_mul_i32 s10, s12, s38
	v_subrev_co_u32_e32 v28, vcc, s20, v0
	v_mov_b32_e32 v3, v4
	s_lshl_b64 s[10:11], s[10:11], 4
	v_subbrev_co_u32_e32 v29, vcc, 0, v1, vcc
	v_lshlrev_b64 v[2:3], 4, v[2:3]
	s_add_u32 s10, s10, s30
	v_mov_b32_e32 v4, 0x1000
	s_addc_u32 s11, s11, s31
	v_add_co_u32_e32 v43, vcc, s10, v2
	v_mov_b32_e32 v2, s22
	v_lshl_or_b32 v25, v6, 6, v4
	v_mov_b32_e32 v4, s11
	v_mad_u64_u32 v[0:1], s[10:11], s12, v2, v[0:1]
	v_addc_co_u32_e32 v44, vcc, v4, v3, vcc
	s_mul_i32 s10, s12, s23
	v_add_u32_e32 v1, s10, v1
	v_add_co_u32_e32 v0, vcc, v0, v24
	v_addc_co_u32_e32 v1, vcc, 0, v1, vcc
	v_subrev_co_u32_e32 v0, vcc, s20, v0
	v_subbrev_co_u32_e32 v1, vcc, 0, v1, vcc
	v_lshlrev_b64 v[2:3], 3, v[0:1]
	v_mov_b32_e32 v4, s27
	v_add_co_u32_e32 v32, vcc, s26, v2
	v_addc_co_u32_e32 v33, vcc, v4, v3, vcc
	v_lshlrev_b64 v[0:1], 4, v[0:1]
	v_mov_b32_e32 v2, s29
	v_add_co_u32_e32 v0, vcc, s28, v0
	v_addc_co_u32_e32 v1, vcc, v1, v2, vcc
	v_lshlrev_b32_e32 v41, 7, v6
	v_add_co_u32_e32 v34, vcc, 8, v0
	v_pk_mov_b32 v[38:39], 0, 0
	v_lshl_or_b32 v40, v24, 3, v25
	v_lshl_or_b32 v42, v24, 4, v41
	v_cmp_gt_i64_e64 s[8:9], s[18:19], v[18:19]
	v_addc_co_u32_e32 v35, vcc, 0, v1, vcc
	s_mov_b64 s[16:17], 0
	v_pk_mov_b32 v[30:31], v[38:39], v[38:39] op_sel:[0,1]
	v_pk_mov_b32 v[36:37], v[38:39], v[38:39] op_sel:[0,1]
	s_branch .LBB11_11
.LBB11_10:                              ;   in Loop: Header=BB11_11 Depth=1
	s_or_b64 exec, exec, s[10:11]
	v_add_co_u32_e32 v28, vcc, 8, v28
	v_addc_co_u32_e32 v29, vcc, 0, v29, vcc
	v_add_co_u32_e32 v32, vcc, 64, v32
	v_addc_co_u32_e32 v33, vcc, 0, v33, vcc
	v_add_co_u32_e32 v34, vcc, 0x80, v34
	v_cmp_ge_i64_e64 s[10:11], v[28:29], v[26:27]
	s_or_b64 s[16:17], s[10:11], s[16:17]
	v_addc_co_u32_e32 v35, vcc, 0, v35, vcc
	s_andn2_b64 exec, exec, s[16:17]
	s_cbranch_execz .LBB11_15
.LBB11_11:                              ; =>This Inner Loop Header: Depth=1
	v_add_co_u32_e32 v0, vcc, v24, v28
	v_addc_co_u32_e32 v1, vcc, 0, v29, vcc
	v_cmp_lt_i64_e32 vcc, v[0:1], v[26:27]
	v_pk_mov_b32 v[4:5], v[38:39], v[38:39] op_sel:[0,1]
	v_pk_mov_b32 v[0:1], v[38:39], v[38:39] op_sel:[0,1]
	;; [unrolled: 1-line block ×3, first 2 shown]
	s_barrier
	s_and_saveexec_b64 s[10:11], vcc
	s_cbranch_execz .LBB11_13
; %bb.12:                               ;   in Loop: Header=BB11_11 Depth=1
	global_load_dwordx2 v[4:5], v[32:33], off
	global_load_dwordx4 v[0:3], v[34:35], off offset:-8
	v_mov_b32_e32 v6, s13
	s_waitcnt vmcnt(1)
	v_subrev_co_u32_e32 v4, vcc, s20, v4
	v_subb_co_u32_e32 v5, vcc, v5, v6, vcc
	s_waitcnt vmcnt(0)
	v_xor_b32_e32 v6, 0x80000000, v3
	v_cndmask_b32_e64 v3, v3, v6, s[4:5]
.LBB11_13:                              ;   in Loop: Header=BB11_11 Depth=1
	s_or_b64 exec, exec, s[10:11]
	ds_write_b64 v40, v[4:5]
	ds_write_b128 v42, v[0:3]
	s_waitcnt lgkmcnt(0)
	s_barrier
	s_and_saveexec_b64 s[10:11], s[8:9]
	s_cbranch_execz .LBB11_10
; %bb.14:                               ;   in Loop: Header=BB11_11 Depth=1
	ds_read_b128 v[0:3], v25
	ds_read_b128 v[46:49], v25 offset:16
	ds_read_b128 v[50:53], v25 offset:32
	;; [unrolled: 1-line block ×3, first 2 shown]
	s_waitcnt lgkmcnt(3)
	v_lshlrev_b64 v[0:1], 4, v[0:1]
	v_add_co_u32_e32 v54, vcc, v43, v0
	v_addc_co_u32_e32 v55, vcc, v44, v1, vcc
	v_lshlrev_b64 v[0:1], 4, v[2:3]
	v_add_co_u32_e32 v56, vcc, v43, v0
	v_addc_co_u32_e32 v57, vcc, v44, v1, vcc
	s_waitcnt lgkmcnt(2)
	v_lshlrev_b64 v[46:47], 4, v[46:47]
	v_add_co_u32_e32 v58, vcc, v43, v46
	v_addc_co_u32_e32 v59, vcc, v44, v47, vcc
	v_lshlrev_b64 v[46:47], 4, v[48:49]
	global_load_dwordx4 v[4:7], v[54:55], off
	global_load_dwordx4 v[0:3], v[56:57], off
	v_add_co_u32_e32 v60, vcc, v43, v46
	v_addc_co_u32_e32 v61, vcc, v44, v47, vcc
	global_load_dwordx4 v[46:49], v[58:59], off
	global_load_dwordx4 v[54:57], v[60:61], off
	s_waitcnt lgkmcnt(1)
	v_lshlrev_b64 v[50:51], 4, v[50:51]
	v_add_co_u32_e32 v62, vcc, v43, v50
	v_addc_co_u32_e32 v63, vcc, v44, v51, vcc
	v_lshlrev_b64 v[50:51], 4, v[52:53]
	v_add_co_u32_e32 v64, vcc, v43, v50
	v_addc_co_u32_e32 v65, vcc, v44, v51, vcc
	global_load_dwordx4 v[50:53], v[62:63], off
	global_load_dwordx4 v[58:61], v[64:65], off
	s_waitcnt lgkmcnt(0)
	v_lshlrev_b64 v[8:9], 4, v[8:9]
	v_add_co_u32_e32 v66, vcc, v43, v8
	v_addc_co_u32_e32 v67, vcc, v44, v9, vcc
	v_lshlrev_b64 v[8:9], 4, v[10:11]
	v_add_co_u32_e32 v68, vcc, v43, v8
	v_addc_co_u32_e32 v69, vcc, v44, v9, vcc
	global_load_dwordx4 v[8:11], v[66:67], off
	global_load_dwordx4 v[62:65], v[68:69], off
	ds_read_b128 v[66:69], v41
	ds_read_b128 v[70:73], v41 offset:16
	ds_read_b128 v[74:77], v41 offset:32
	;; [unrolled: 1-line block ×7, first 2 shown]
	s_waitcnt vmcnt(7)
	v_xor_b32_e32 v45, 0x80000000, v7
	s_waitcnt lgkmcnt(7)
	v_fmac_f64_e32 v[36:37], v[66:67], v[4:5]
	v_fmac_f64_e32 v[30:31], v[68:69], v[4:5]
	s_waitcnt vmcnt(6)
	v_xor_b32_e32 v4, 0x80000000, v3
	v_cndmask_b32_e64 v7, v7, v45, s[6:7]
	s_waitcnt vmcnt(5)
	v_xor_b32_e32 v5, 0x80000000, v49
	v_cndmask_b32_e64 v3, v3, v4, s[6:7]
	v_cndmask_b32_e64 v49, v49, v5, s[6:7]
	v_fma_f64 v[4:5], -v[68:69], v[6:7], v[36:37]
	v_fmac_f64_e32 v[30:31], v[66:67], v[6:7]
	s_waitcnt lgkmcnt(6)
	v_fmac_f64_e32 v[4:5], v[70:71], v[0:1]
	v_fmac_f64_e32 v[30:31], v[72:73], v[0:1]
	v_fma_f64 v[0:1], -v[72:73], v[2:3], v[4:5]
	v_fmac_f64_e32 v[30:31], v[70:71], v[2:3]
	s_waitcnt lgkmcnt(5)
	v_fmac_f64_e32 v[0:1], v[74:75], v[46:47]
	v_fmac_f64_e32 v[30:31], v[76:77], v[46:47]
	s_waitcnt vmcnt(4)
	v_xor_b32_e32 v98, 0x80000000, v57
	v_fma_f64 v[0:1], -v[76:77], v[48:49], v[0:1]
	v_fmac_f64_e32 v[30:31], v[74:75], v[48:49]
	v_cndmask_b32_e64 v57, v57, v98, s[6:7]
	s_waitcnt lgkmcnt(4)
	v_fmac_f64_e32 v[0:1], v[78:79], v[54:55]
	v_fmac_f64_e32 v[30:31], v[80:81], v[54:55]
	s_waitcnt vmcnt(3)
	v_xor_b32_e32 v99, 0x80000000, v53
	v_fma_f64 v[0:1], -v[80:81], v[56:57], v[0:1]
	v_fmac_f64_e32 v[30:31], v[78:79], v[56:57]
	v_cndmask_b32_e64 v53, v53, v99, s[6:7]
	;; [unrolled: 8-line block ×5, first 2 shown]
	s_waitcnt lgkmcnt(0)
	v_fmac_f64_e32 v[0:1], v[94:95], v[62:63]
	v_fmac_f64_e32 v[30:31], v[96:97], v[62:63]
	v_fma_f64 v[36:37], -v[96:97], v[64:65], v[0:1]
	v_fmac_f64_e32 v[30:31], v[94:95], v[64:65]
	s_branch .LBB11_10
.LBB11_15:
	s_or_b64 exec, exec, s[16:17]
.LBB11_16:
	s_or_b64 exec, exec, s[14:15]
	v_cmp_gt_i64_e32 vcc, s[18:19], v[18:19]
	s_and_b64 exec, exec, vcc
	s_cbranch_execz .LBB11_27
; %bb.17:
	v_cmp_neq_f64_e32 vcc, 0, v[14:15]
	v_cmp_neq_f64_e64 s[4:5], 0, v[16:17]
	s_or_b64 s[8:9], vcc, s[4:5]
	s_waitcnt lgkmcnt(0)
	s_cmp_lg_u32 s46, 1
	v_mul_f64 v[0:1], v[30:31], -v[22:23]
	v_mul_f64 v[2:3], v[20:21], v[30:31]
	s_cselect_b64 s[6:7], -1, 0
	s_mul_i32 s13, s12, s45
	s_mul_hi_u32 s14, s12, s44
	s_mul_i32 s4, s12, s44
	v_fmac_f64_e32 v[0:1], v[20:21], v[36:37]
	v_fmac_f64_e32 v[2:3], v[22:23], v[36:37]
	s_and_saveexec_b64 s[10:11], s[8:9]
	s_xor_b64 s[8:9], exec, s[10:11]
	s_cbranch_execz .LBB11_22
; %bb.18:
	s_add_i32 s5, s14, s13
	s_mov_b64 s[10:11], -1
	s_and_b64 vcc, exec, s[6:7]
	s_cbranch_vccz .LBB11_20
; %bb.19:
	v_mad_u64_u32 v[4:5], s[10:11], v12, s42, 0
	v_mov_b32_e32 v6, v5
	v_mad_u64_u32 v[6:7], s[10:11], v12, s43, v[6:7]
	v_mov_b32_e32 v5, v6
	v_lshlrev_b64 v[4:5], 4, v[4:5]
	v_mov_b32_e32 v6, s41
	v_add_co_u32_e32 v7, vcc, s40, v4
	v_addc_co_u32_e32 v6, vcc, v6, v5, vcc
	v_lshlrev_b64 v[4:5], 4, v[18:19]
	v_add_co_u32_e32 v4, vcc, v7, v4
	v_addc_co_u32_e32 v5, vcc, v6, v5, vcc
	s_lshl_b64 s[10:11], s[4:5], 4
	v_mov_b32_e32 v6, s11
	v_add_co_u32_e32 v20, vcc, s10, v4
	v_addc_co_u32_e32 v21, vcc, v5, v6, vcc
	global_load_dwordx4 v[4:7], v[20:21], off
	s_mov_b64 s[10:11], 0
	s_waitcnt vmcnt(0)
	v_fma_f64 v[8:9], v[14:15], v[4:5], v[0:1]
	v_fma_f64 v[10:11], v[16:17], v[4:5], v[2:3]
	v_fma_f64 v[8:9], -v[16:17], v[6:7], v[8:9]
	v_fmac_f64_e32 v[10:11], v[14:15], v[6:7]
	global_store_dwordx4 v[20:21], v[8:11], off
.LBB11_20:
	s_andn2_b64 vcc, exec, s[10:11]
	s_cbranch_vccnz .LBB11_22
; %bb.21:
	v_mad_u64_u32 v[4:5], s[10:11], v18, s42, 0
	v_mov_b32_e32 v6, v5
	v_mad_u64_u32 v[6:7], s[10:11], v18, s43, v[6:7]
	v_mov_b32_e32 v5, v6
	v_lshlrev_b64 v[4:5], 4, v[4:5]
	v_mov_b32_e32 v6, s41
	v_add_co_u32_e32 v7, vcc, s40, v4
	v_addc_co_u32_e32 v6, vcc, v6, v5, vcc
	v_lshlrev_b64 v[4:5], 4, v[12:13]
	v_add_co_u32_e32 v4, vcc, v7, v4
	v_addc_co_u32_e32 v5, vcc, v6, v5, vcc
	s_lshl_b64 s[10:11], s[4:5], 4
	v_mov_b32_e32 v6, s11
	v_add_co_u32_e32 v8, vcc, s10, v4
	v_addc_co_u32_e32 v9, vcc, v5, v6, vcc
	global_load_dwordx4 v[4:7], v[8:9], off
                                        ; implicit-def: $vgpr18_vgpr19
                                        ; implicit-def: $vgpr12_vgpr13
	s_waitcnt vmcnt(0)
	v_fmac_f64_e32 v[0:1], v[14:15], v[4:5]
	v_fmac_f64_e32 v[2:3], v[16:17], v[4:5]
	v_fma_f64 v[0:1], -v[16:17], v[6:7], v[0:1]
	v_fmac_f64_e32 v[2:3], v[14:15], v[6:7]
	global_store_dwordx4 v[8:9], v[0:3], off
                                        ; implicit-def: $vgpr0_vgpr1
.LBB11_22:
	s_andn2_saveexec_b64 s[8:9], s[8:9]
	s_cbranch_execz .LBB11_27
; %bb.23:
	s_add_i32 s5, s14, s13
	s_mov_b64 s[8:9], -1
	s_and_b64 vcc, exec, s[6:7]
	s_cbranch_vccz .LBB11_25
; %bb.24:
	v_mad_u64_u32 v[4:5], s[6:7], v12, s42, 0
	v_mov_b32_e32 v6, v5
	v_mad_u64_u32 v[6:7], s[6:7], v12, s43, v[6:7]
	v_mov_b32_e32 v5, v6
	v_lshlrev_b64 v[4:5], 4, v[4:5]
	v_mov_b32_e32 v6, s41
	v_add_co_u32_e32 v7, vcc, s40, v4
	v_addc_co_u32_e32 v6, vcc, v6, v5, vcc
	v_lshlrev_b64 v[4:5], 4, v[18:19]
	v_add_co_u32_e32 v4, vcc, v7, v4
	v_addc_co_u32_e32 v5, vcc, v6, v5, vcc
	s_lshl_b64 s[6:7], s[4:5], 4
	v_mov_b32_e32 v6, s7
	v_add_co_u32_e32 v4, vcc, s6, v4
	v_addc_co_u32_e32 v5, vcc, v5, v6, vcc
	global_store_dwordx4 v[4:5], v[0:3], off
	s_mov_b64 s[8:9], 0
.LBB11_25:
	s_andn2_b64 vcc, exec, s[8:9]
	s_cbranch_vccnz .LBB11_27
; %bb.26:
	v_mad_u64_u32 v[4:5], s[6:7], v18, s42, 0
	v_mov_b32_e32 v6, v5
	v_mad_u64_u32 v[6:7], s[6:7], v18, s43, v[6:7]
	v_mov_b32_e32 v5, v6
	v_lshlrev_b64 v[4:5], 4, v[4:5]
	v_mov_b32_e32 v6, s41
	v_add_co_u32_e32 v7, vcc, s40, v4
	v_addc_co_u32_e32 v6, vcc, v6, v5, vcc
	v_lshlrev_b64 v[4:5], 4, v[12:13]
	v_add_co_u32_e32 v4, vcc, v7, v4
	v_addc_co_u32_e32 v5, vcc, v6, v5, vcc
	s_lshl_b64 s[4:5], s[4:5], 4
	v_mov_b32_e32 v6, s5
	v_add_co_u32_e32 v4, vcc, s4, v4
	v_addc_co_u32_e32 v5, vcc, v5, v6, vcc
	global_store_dwordx4 v[4:5], v[0:3], off
.LBB11_27:
	s_endpgm
	.section	.rodata,"a",@progbits
	.p2align	6, 0x0
	.amdhsa_kernel _ZN9rocsparse31csrmmnn_row_split_shared_kernelILj256ELj8E21rocsparse_complex_numIdEllS2_S2_S2_EEvNS_24const_host_device_scalarIT1_EES5_bbbT3_S6_llPKT2_PKS6_PKT4_PKT5_llPT6_ll16rocsparse_order_21rocsparse_index_base_
		.amdhsa_group_segment_fixed_size 8192
		.amdhsa_private_segment_fixed_size 16
		.amdhsa_kernarg_size 152
		.amdhsa_user_sgpr_count 10
		.amdhsa_user_sgpr_private_segment_buffer 1
		.amdhsa_user_sgpr_dispatch_ptr 1
		.amdhsa_user_sgpr_queue_ptr 0
		.amdhsa_user_sgpr_kernarg_segment_ptr 1
		.amdhsa_user_sgpr_dispatch_id 0
		.amdhsa_user_sgpr_flat_scratch_init 1
		.amdhsa_user_sgpr_kernarg_preload_length 0
		.amdhsa_user_sgpr_kernarg_preload_offset 0
		.amdhsa_user_sgpr_private_segment_size 0
		.amdhsa_uses_dynamic_stack 0
		.amdhsa_system_sgpr_private_segment_wavefront_offset 1
		.amdhsa_system_sgpr_workgroup_id_x 1
		.amdhsa_system_sgpr_workgroup_id_y 1
		.amdhsa_system_sgpr_workgroup_id_z 1
		.amdhsa_system_sgpr_workgroup_info 0
		.amdhsa_system_vgpr_workitem_id 2
		.amdhsa_next_free_vgpr 103
		.amdhsa_next_free_sgpr 48
		.amdhsa_accum_offset 104
		.amdhsa_reserve_vcc 1
		.amdhsa_reserve_flat_scratch 1
		.amdhsa_float_round_mode_32 0
		.amdhsa_float_round_mode_16_64 0
		.amdhsa_float_denorm_mode_32 3
		.amdhsa_float_denorm_mode_16_64 3
		.amdhsa_dx10_clamp 1
		.amdhsa_ieee_mode 1
		.amdhsa_fp16_overflow 0
		.amdhsa_tg_split 0
		.amdhsa_exception_fp_ieee_invalid_op 0
		.amdhsa_exception_fp_denorm_src 0
		.amdhsa_exception_fp_ieee_div_zero 0
		.amdhsa_exception_fp_ieee_overflow 0
		.amdhsa_exception_fp_ieee_underflow 0
		.amdhsa_exception_fp_ieee_inexact 0
		.amdhsa_exception_int_div_zero 0
	.end_amdhsa_kernel
	.section	.text._ZN9rocsparse31csrmmnn_row_split_shared_kernelILj256ELj8E21rocsparse_complex_numIdEllS2_S2_S2_EEvNS_24const_host_device_scalarIT1_EES5_bbbT3_S6_llPKT2_PKS6_PKT4_PKT5_llPT6_ll16rocsparse_order_21rocsparse_index_base_,"axG",@progbits,_ZN9rocsparse31csrmmnn_row_split_shared_kernelILj256ELj8E21rocsparse_complex_numIdEllS2_S2_S2_EEvNS_24const_host_device_scalarIT1_EES5_bbbT3_S6_llPKT2_PKS6_PKT4_PKT5_llPT6_ll16rocsparse_order_21rocsparse_index_base_,comdat
.Lfunc_end11:
	.size	_ZN9rocsparse31csrmmnn_row_split_shared_kernelILj256ELj8E21rocsparse_complex_numIdEllS2_S2_S2_EEvNS_24const_host_device_scalarIT1_EES5_bbbT3_S6_llPKT2_PKS6_PKT4_PKT5_llPT6_ll16rocsparse_order_21rocsparse_index_base_, .Lfunc_end11-_ZN9rocsparse31csrmmnn_row_split_shared_kernelILj256ELj8E21rocsparse_complex_numIdEllS2_S2_S2_EEvNS_24const_host_device_scalarIT1_EES5_bbbT3_S6_llPKT2_PKS6_PKT4_PKT5_llPT6_ll16rocsparse_order_21rocsparse_index_base_
                                        ; -- End function
	.section	.AMDGPU.csdata,"",@progbits
; Kernel info:
; codeLenInByte = 2200
; NumSgprs: 54
; NumVgprs: 103
; NumAgprs: 0
; TotalNumVgprs: 103
; ScratchSize: 16
; MemoryBound: 1
; FloatMode: 240
; IeeeMode: 1
; LDSByteSize: 8192 bytes/workgroup (compile time only)
; SGPRBlocks: 6
; VGPRBlocks: 12
; NumSGPRsForWavesPerEU: 54
; NumVGPRsForWavesPerEU: 103
; AccumOffset: 104
; Occupancy: 4
; WaveLimiterHint : 0
; COMPUTE_PGM_RSRC2:SCRATCH_EN: 1
; COMPUTE_PGM_RSRC2:USER_SGPR: 10
; COMPUTE_PGM_RSRC2:TRAP_HANDLER: 0
; COMPUTE_PGM_RSRC2:TGID_X_EN: 1
; COMPUTE_PGM_RSRC2:TGID_Y_EN: 1
; COMPUTE_PGM_RSRC2:TGID_Z_EN: 1
; COMPUTE_PGM_RSRC2:TIDIG_COMP_CNT: 2
; COMPUTE_PGM_RSRC3_GFX90A:ACCUM_OFFSET: 25
; COMPUTE_PGM_RSRC3_GFX90A:TG_SPLIT: 0
	.section	.text._ZN9rocsparse31csrmmnn_row_split_shared_kernelILj256ELj8EfiiDF16_DF16_fEEvNS_24const_host_device_scalarIT1_EES3_bbbT3_S4_llPKT2_PKS4_PKT4_PKT5_llPT6_ll16rocsparse_order_21rocsparse_index_base_,"axG",@progbits,_ZN9rocsparse31csrmmnn_row_split_shared_kernelILj256ELj8EfiiDF16_DF16_fEEvNS_24const_host_device_scalarIT1_EES3_bbbT3_S4_llPKT2_PKS4_PKT4_PKT5_llPT6_ll16rocsparse_order_21rocsparse_index_base_,comdat
	.protected	_ZN9rocsparse31csrmmnn_row_split_shared_kernelILj256ELj8EfiiDF16_DF16_fEEvNS_24const_host_device_scalarIT1_EES3_bbbT3_S4_llPKT2_PKS4_PKT4_PKT5_llPT6_ll16rocsparse_order_21rocsparse_index_base_ ; -- Begin function _ZN9rocsparse31csrmmnn_row_split_shared_kernelILj256ELj8EfiiDF16_DF16_fEEvNS_24const_host_device_scalarIT1_EES3_bbbT3_S4_llPKT2_PKS4_PKT4_PKT5_llPT6_ll16rocsparse_order_21rocsparse_index_base_
	.globl	_ZN9rocsparse31csrmmnn_row_split_shared_kernelILj256ELj8EfiiDF16_DF16_fEEvNS_24const_host_device_scalarIT1_EES3_bbbT3_S4_llPKT2_PKS4_PKT4_PKT5_llPT6_ll16rocsparse_order_21rocsparse_index_base_
	.p2align	8
	.type	_ZN9rocsparse31csrmmnn_row_split_shared_kernelILj256ELj8EfiiDF16_DF16_fEEvNS_24const_host_device_scalarIT1_EES3_bbbT3_S4_llPKT2_PKS4_PKT4_PKT5_llPT6_ll16rocsparse_order_21rocsparse_index_base_,@function
_ZN9rocsparse31csrmmnn_row_split_shared_kernelILj256ELj8EfiiDF16_DF16_fEEvNS_24const_host_device_scalarIT1_EES3_bbbT3_S4_llPKT2_PKS4_PKT4_PKT5_llPT6_ll16rocsparse_order_21rocsparse_index_base_: ; @_ZN9rocsparse31csrmmnn_row_split_shared_kernelILj256ELj8EfiiDF16_DF16_fEEvNS_24const_host_device_scalarIT1_EES3_bbbT3_S4_llPKT2_PKS4_PKT4_PKT5_llPT6_ll16rocsparse_order_21rocsparse_index_base_
; %bb.0:
	s_load_dwordx8 s[36:43], s[4:5], 0x0
	s_waitcnt lgkmcnt(0)
	s_bitcmp1_b32 s40, 0
	s_cselect_b64 s[2:3], -1, 0
	s_xor_b64 s[0:1], s[2:3], -1
	s_and_b64 vcc, exec, s[2:3]
	s_cbranch_vccnz .LBB12_2
; %bb.1:
	s_load_dword s36, s[36:37], 0x0
.LBB12_2:
	s_andn2_b64 vcc, exec, s[0:1]
	s_cbranch_vccnz .LBB12_4
; %bb.3:
	s_load_dword s38, s[38:39], 0x0
.LBB12_4:
	s_waitcnt lgkmcnt(0)
	v_cmp_eq_f32_e64 s[0:1], s36, 0
	v_cmp_eq_f32_e64 s[2:3], s38, 1.0
	s_and_b64 s[0:1], s[0:1], s[2:3]
	s_and_b64 vcc, exec, s[0:1]
	s_cbranch_vccnz .LBB12_21
; %bb.5:
	v_lshl_or_b32 v1, s6, 8, v0
	v_lshrrev_b32_e32 v6, 3, v1
	v_cmp_gt_i32_e32 vcc, s41, v6
	s_and_saveexec_b64 s[0:1], vcc
	s_cbranch_execz .LBB12_21
; %bb.6:
	s_load_dwordx16 s[12:27], s[4:5], 0x20
	s_ashr_i32 s9, s8, 31
	v_lshlrev_b32_e32 v1, 2, v6
	s_load_dwordx2 s[10:11], s[4:5], 0x78
	v_and_b32_e32 v7, 7, v0
	s_waitcnt lgkmcnt(0)
	s_mul_i32 s1, s8, s13
	s_mul_hi_u32 s2, s8, s12
	s_mul_i32 s3, s9, s12
	s_add_i32 s1, s2, s1
	s_mul_i32 s0, s8, s12
	s_add_i32 s1, s1, s3
	s_lshl_b64 s[0:1], s[0:1], 2
	s_add_u32 s0, s16, s0
	s_addc_u32 s1, s17, s1
	global_load_dwordx2 v[4:5], v1, s[0:1]
	v_lshl_or_b32 v2, s7, 3, v7
	v_ashrrev_i32_e32 v3, 31, v2
	v_mov_b32_e32 v11, 0
	s_waitcnt vmcnt(0)
	v_cmp_lt_i32_e32 vcc, v4, v5
	s_and_saveexec_b64 s[2:3], vcc
	s_cbranch_execz .LBB12_14
; %bb.7:
	v_mad_u64_u32 v[12:13], s[0:1], v2, s24, 0
	s_mul_i32 s0, s8, s15
	s_mul_hi_u32 s1, s8, s14
	s_add_i32 s0, s1, s0
	s_mul_i32 s1, s9, s14
	s_add_i32 s15, s0, s1
	s_mul_i32 s0, s8, s27
	s_mul_hi_u32 s1, s8, s26
	s_add_i32 s0, s1, s0
	s_mul_i32 s1, s9, s26
	s_add_i32 s1, s0, s1
	s_mul_i32 s0, s8, s26
	v_mul_lo_u32 v8, v3, s24
	v_mul_lo_u32 v9, v2, s25
	s_lshl_b64 s[0:1], s[0:1], 1
	v_add3_u32 v13, v13, v9, v8
	v_lshlrev_b32_e32 v0, 2, v0
	s_add_u32 s0, s0, s22
	v_and_b32_e32 v0, 0x3e0, v0
	v_lshlrev_b64 v[12:13], 1, v[12:13]
	s_addc_u32 s1, s1, s23
	v_lshlrev_b32_e32 v10, 2, v7
	v_or_b32_e32 v9, 0x400, v0
	v_mov_b32_e32 v11, s1
	v_add_co_u32_e64 v12, s[0:1], s0, v12
	v_subrev_u32_e32 v5, s11, v5
	v_subrev_u32_e32 v4, s11, v4
	v_or_b32_e32 v8, v0, v10
	v_or_b32_e32 v10, v9, v10
	s_mul_i32 s14, s8, s14
	v_cmp_gt_i32_e32 vcc, s42, v2
	v_addc_co_u32_e64 v13, s[0:1], v11, v13, s[0:1]
	s_mov_b64 s[6:7], 0
	v_mov_b32_e32 v11, 0
	s_branch .LBB12_9
.LBB12_8:                               ;   in Loop: Header=BB12_9 Depth=1
	s_or_b64 exec, exec, s[12:13]
	v_add_u32_e32 v4, 8, v4
	v_cmp_ge_i32_e64 s[0:1], v4, v5
	s_or_b64 s[6:7], s[0:1], s[6:7]
	s_andn2_b64 exec, exec, s[6:7]
	s_cbranch_execz .LBB12_13
.LBB12_9:                               ; =>This Inner Loop Header: Depth=1
	v_add_u32_e32 v14, v7, v4
	v_cmp_lt_i32_e64 s[0:1], v14, v5
	v_mov_b32_e32 v16, 0
	v_mov_b32_e32 v15, 0
	s_barrier
	s_and_saveexec_b64 s[12:13], s[0:1]
	s_cbranch_execz .LBB12_11
; %bb.10:                               ;   in Loop: Header=BB12_9 Depth=1
	v_ashrrev_i32_e32 v15, 31, v14
	v_mov_b32_e32 v16, s15
	v_add_co_u32_e64 v14, s[0:1], s14, v14
	v_addc_co_u32_e64 v15, s[0:1], v16, v15, s[0:1]
	v_lshlrev_b64 v[16:17], 2, v[14:15]
	v_lshlrev_b64 v[14:15], 1, v[14:15]
	v_mov_b32_e32 v19, s21
	v_add_co_u32_e64 v14, s[0:1], s20, v14
	v_addc_co_u32_e64 v15, s[0:1], v19, v15, s[0:1]
	global_load_ushort v19, v[14:15], off
	v_mov_b32_e32 v18, s19
	v_add_co_u32_e64 v14, s[0:1], s18, v16
	v_addc_co_u32_e64 v15, s[0:1], v18, v17, s[0:1]
	global_load_dword v14, v[14:15], off
	s_waitcnt vmcnt(1)
	v_cvt_f32_f16_e32 v15, v19
	s_waitcnt vmcnt(0)
	v_subrev_u32_e32 v16, s11, v14
.LBB12_11:                              ;   in Loop: Header=BB12_9 Depth=1
	s_or_b64 exec, exec, s[12:13]
	ds_write_b32 v8, v16
	ds_write_b32 v10, v15
	s_waitcnt lgkmcnt(0)
	s_barrier
	s_and_saveexec_b64 s[12:13], vcc
	s_cbranch_execz .LBB12_8
; %bb.12:                               ;   in Loop: Header=BB12_9 Depth=1
	ds_read_b128 v[14:17], v0
	ds_read_b128 v[18:21], v0 offset:16
	s_waitcnt lgkmcnt(1)
	v_ashrrev_i32_e32 v23, 31, v14
	v_mov_b32_e32 v22, v14
	v_lshlrev_b64 v[22:23], 1, v[22:23]
	v_add_co_u32_e64 v22, s[0:1], v12, v22
	v_ashrrev_i32_e32 v25, 31, v15
	v_mov_b32_e32 v24, v15
	v_addc_co_u32_e64 v23, s[0:1], v13, v23, s[0:1]
	v_lshlrev_b64 v[14:15], 1, v[24:25]
	v_add_co_u32_e64 v14, s[0:1], v12, v14
	v_ashrrev_i32_e32 v25, 31, v16
	v_mov_b32_e32 v24, v16
	v_addc_co_u32_e64 v15, s[0:1], v13, v15, s[0:1]
	;; [unrolled: 5-line block ×3, first 2 shown]
	v_lshlrev_b64 v[16:17], 1, v[26:27]
	v_add_co_u32_e64 v16, s[0:1], v12, v16
	s_waitcnt lgkmcnt(0)
	v_ashrrev_i32_e32 v27, 31, v18
	v_mov_b32_e32 v26, v18
	v_addc_co_u32_e64 v17, s[0:1], v13, v17, s[0:1]
	v_lshlrev_b64 v[26:27], 1, v[26:27]
	v_add_co_u32_e64 v26, s[0:1], v12, v26
	v_ashrrev_i32_e32 v29, 31, v19
	v_mov_b32_e32 v28, v19
	v_addc_co_u32_e64 v27, s[0:1], v13, v27, s[0:1]
	v_lshlrev_b64 v[18:19], 1, v[28:29]
	v_add_co_u32_e64 v18, s[0:1], v12, v18
	;; [unrolled: 5-line block ×4, first 2 shown]
	v_addc_co_u32_e64 v21, s[0:1], v13, v21, s[0:1]
	global_load_ushort v30, v[22:23], off
	global_load_ushort v31, v[14:15], off
	;; [unrolled: 1-line block ×8, first 2 shown]
	ds_read_b128 v[14:17], v9
	ds_read_b128 v[18:21], v9 offset:16
	s_waitcnt vmcnt(7) lgkmcnt(1)
	v_fma_mix_f32 v11, v14, v30, v11 op_sel_hi:[0,1,0]
	s_waitcnt vmcnt(6)
	v_fma_mix_f32 v11, v15, v31, v11 op_sel_hi:[0,1,0]
	s_waitcnt vmcnt(5)
	;; [unrolled: 2-line block ×3, first 2 shown]
	v_fma_mix_f32 v11, v17, v33, v11 op_sel_hi:[0,1,0]
	s_waitcnt vmcnt(3) lgkmcnt(0)
	v_fma_mix_f32 v11, v18, v34, v11 op_sel_hi:[0,1,0]
	s_waitcnt vmcnt(2)
	v_fma_mix_f32 v11, v19, v35, v11 op_sel_hi:[0,1,0]
	s_waitcnt vmcnt(1)
	;; [unrolled: 2-line block ×3, first 2 shown]
	v_fma_mix_f32 v11, v21, v37, v11 op_sel_hi:[0,1,0]
	s_branch .LBB12_8
.LBB12_13:
	s_or_b64 exec, exec, s[6:7]
.LBB12_14:
	s_or_b64 exec, exec, s[2:3]
	v_cmp_gt_i32_e32 vcc, s42, v2
	s_and_b64 exec, exec, vcc
	s_cbranch_execz .LBB12_21
; %bb.15:
	s_load_dwordx4 s[0:3], s[4:5], 0x60
	s_load_dwordx2 s[14:15], s[4:5], 0x70
	v_cmp_neq_f32_e64 s[4:5], s38, 0
	s_cmp_lg_u32 s10, 1
	s_cselect_b64 s[6:7], -1, 0
	s_and_b64 vcc, exec, s[4:5]
	v_mul_f32_e32 v0, s36, v11
	s_waitcnt lgkmcnt(0)
	s_mul_i32 s10, s8, s15
	s_mul_hi_u32 s11, s8, s14
	s_mul_i32 s12, s9, s14
	s_mul_i32 s4, s8, s14
	s_cbranch_vccz .LBB12_22
; %bb.16:
	s_add_i32 s5, s11, s10
	s_add_i32 s5, s5, s12
	s_mov_b64 s[8:9], -1
	s_and_b64 vcc, exec, s[6:7]
	s_cbranch_vccz .LBB12_18
; %bb.17:
	v_mad_u64_u32 v[4:5], s[8:9], v6, s2, 0
	v_mov_b32_e32 v8, v5
	v_mad_u64_u32 v[8:9], s[8:9], v6, s3, v[8:9]
	v_mov_b32_e32 v5, v8
	v_lshlrev_b64 v[4:5], 2, v[4:5]
	v_mov_b32_e32 v7, s1
	v_add_co_u32_e32 v8, vcc, s0, v4
	v_addc_co_u32_e32 v7, vcc, v7, v5, vcc
	v_lshlrev_b64 v[4:5], 2, v[2:3]
	v_add_co_u32_e32 v4, vcc, v8, v4
	v_addc_co_u32_e32 v5, vcc, v7, v5, vcc
	s_lshl_b64 s[8:9], s[4:5], 2
	v_mov_b32_e32 v7, s9
	v_add_co_u32_e32 v4, vcc, s8, v4
	v_addc_co_u32_e32 v5, vcc, v5, v7, vcc
	global_load_dword v7, v[4:5], off
	s_mov_b64 s[8:9], 0
	s_waitcnt vmcnt(0)
	v_fma_f32 v7, s38, v7, v0
	global_store_dword v[4:5], v7, off
.LBB12_18:
	s_andn2_b64 vcc, exec, s[8:9]
	s_cbranch_vccnz .LBB12_20
; %bb.19:
	v_mul_lo_u32 v7, v3, s2
	v_mul_lo_u32 v8, v2, s3
	v_mad_u64_u32 v[4:5], s[8:9], v2, s2, 0
	v_add3_u32 v5, v5, v8, v7
	v_lshlrev_b64 v[4:5], 2, v[4:5]
	v_mov_b32_e32 v7, s1
	v_add_co_u32_e32 v4, vcc, s0, v4
	v_addc_co_u32_e32 v5, vcc, v7, v5, vcc
	v_add_co_u32_e32 v4, vcc, v4, v1
	v_addc_co_u32_e32 v5, vcc, 0, v5, vcc
	s_lshl_b64 s[8:9], s[4:5], 2
	v_mov_b32_e32 v7, s9
	v_add_co_u32_e32 v4, vcc, s8, v4
	v_addc_co_u32_e32 v5, vcc, v5, v7, vcc
	global_load_dword v7, v[4:5], off
	s_waitcnt vmcnt(0)
	v_fma_f32 v7, s38, v7, v0
	global_store_dword v[4:5], v7, off
.LBB12_20:
	s_cbranch_execz .LBB12_23
.LBB12_21:
	s_endpgm
.LBB12_22:
.LBB12_23:
	s_add_i32 s5, s11, s10
	s_add_i32 s5, s5, s12
	s_mov_b64 s[8:9], -1
	s_and_b64 vcc, exec, s[6:7]
	s_cbranch_vccz .LBB12_25
; %bb.24:
	v_mad_u64_u32 v[4:5], s[6:7], v6, s2, 0
	v_mov_b32_e32 v8, v5
	v_mad_u64_u32 v[6:7], s[6:7], v6, s3, v[8:9]
	v_mov_b32_e32 v5, v6
	v_lshlrev_b64 v[4:5], 2, v[4:5]
	v_mov_b32_e32 v6, s1
	v_add_co_u32_e32 v7, vcc, s0, v4
	v_addc_co_u32_e32 v6, vcc, v6, v5, vcc
	v_lshlrev_b64 v[4:5], 2, v[2:3]
	v_add_co_u32_e32 v4, vcc, v7, v4
	v_addc_co_u32_e32 v5, vcc, v6, v5, vcc
	s_lshl_b64 s[6:7], s[4:5], 2
	v_mov_b32_e32 v6, s7
	v_add_co_u32_e32 v4, vcc, s6, v4
	v_addc_co_u32_e32 v5, vcc, v5, v6, vcc
	global_store_dword v[4:5], v0, off
	s_mov_b64 s[8:9], 0
.LBB12_25:
	s_andn2_b64 vcc, exec, s[8:9]
	s_cbranch_vccnz .LBB12_21
; %bb.26:
	v_mul_lo_u32 v4, v3, s2
	v_mul_lo_u32 v5, v2, s3
	v_mad_u64_u32 v[2:3], s[2:3], v2, s2, 0
	v_add3_u32 v3, v3, v5, v4
	v_lshlrev_b64 v[2:3], 2, v[2:3]
	v_mov_b32_e32 v4, s1
	v_add_co_u32_e32 v2, vcc, s0, v2
	v_addc_co_u32_e32 v3, vcc, v4, v3, vcc
	v_add_co_u32_e32 v1, vcc, v2, v1
	v_addc_co_u32_e32 v3, vcc, 0, v3, vcc
	s_lshl_b64 s[0:1], s[4:5], 2
	v_mov_b32_e32 v4, s1
	v_add_co_u32_e32 v2, vcc, s0, v1
	v_addc_co_u32_e32 v3, vcc, v3, v4, vcc
	global_store_dword v[2:3], v0, off
	s_endpgm
	.section	.rodata,"a",@progbits
	.p2align	6, 0x0
	.amdhsa_kernel _ZN9rocsparse31csrmmnn_row_split_shared_kernelILj256ELj8EfiiDF16_DF16_fEEvNS_24const_host_device_scalarIT1_EES3_bbbT3_S4_llPKT2_PKS4_PKT4_PKT5_llPT6_ll16rocsparse_order_21rocsparse_index_base_
		.amdhsa_group_segment_fixed_size 2048
		.amdhsa_private_segment_fixed_size 0
		.amdhsa_kernarg_size 128
		.amdhsa_user_sgpr_count 6
		.amdhsa_user_sgpr_private_segment_buffer 1
		.amdhsa_user_sgpr_dispatch_ptr 0
		.amdhsa_user_sgpr_queue_ptr 0
		.amdhsa_user_sgpr_kernarg_segment_ptr 1
		.amdhsa_user_sgpr_dispatch_id 0
		.amdhsa_user_sgpr_flat_scratch_init 0
		.amdhsa_user_sgpr_kernarg_preload_length 0
		.amdhsa_user_sgpr_kernarg_preload_offset 0
		.amdhsa_user_sgpr_private_segment_size 0
		.amdhsa_uses_dynamic_stack 0
		.amdhsa_system_sgpr_private_segment_wavefront_offset 0
		.amdhsa_system_sgpr_workgroup_id_x 1
		.amdhsa_system_sgpr_workgroup_id_y 1
		.amdhsa_system_sgpr_workgroup_id_z 1
		.amdhsa_system_sgpr_workgroup_info 0
		.amdhsa_system_vgpr_workitem_id 0
		.amdhsa_next_free_vgpr 38
		.amdhsa_next_free_sgpr 44
		.amdhsa_accum_offset 40
		.amdhsa_reserve_vcc 1
		.amdhsa_reserve_flat_scratch 0
		.amdhsa_float_round_mode_32 0
		.amdhsa_float_round_mode_16_64 0
		.amdhsa_float_denorm_mode_32 3
		.amdhsa_float_denorm_mode_16_64 3
		.amdhsa_dx10_clamp 1
		.amdhsa_ieee_mode 1
		.amdhsa_fp16_overflow 0
		.amdhsa_tg_split 0
		.amdhsa_exception_fp_ieee_invalid_op 0
		.amdhsa_exception_fp_denorm_src 0
		.amdhsa_exception_fp_ieee_div_zero 0
		.amdhsa_exception_fp_ieee_overflow 0
		.amdhsa_exception_fp_ieee_underflow 0
		.amdhsa_exception_fp_ieee_inexact 0
		.amdhsa_exception_int_div_zero 0
	.end_amdhsa_kernel
	.section	.text._ZN9rocsparse31csrmmnn_row_split_shared_kernelILj256ELj8EfiiDF16_DF16_fEEvNS_24const_host_device_scalarIT1_EES3_bbbT3_S4_llPKT2_PKS4_PKT4_PKT5_llPT6_ll16rocsparse_order_21rocsparse_index_base_,"axG",@progbits,_ZN9rocsparse31csrmmnn_row_split_shared_kernelILj256ELj8EfiiDF16_DF16_fEEvNS_24const_host_device_scalarIT1_EES3_bbbT3_S4_llPKT2_PKS4_PKT4_PKT5_llPT6_ll16rocsparse_order_21rocsparse_index_base_,comdat
.Lfunc_end12:
	.size	_ZN9rocsparse31csrmmnn_row_split_shared_kernelILj256ELj8EfiiDF16_DF16_fEEvNS_24const_host_device_scalarIT1_EES3_bbbT3_S4_llPKT2_PKS4_PKT4_PKT5_llPT6_ll16rocsparse_order_21rocsparse_index_base_, .Lfunc_end12-_ZN9rocsparse31csrmmnn_row_split_shared_kernelILj256ELj8EfiiDF16_DF16_fEEvNS_24const_host_device_scalarIT1_EES3_bbbT3_S4_llPKT2_PKS4_PKT4_PKT5_llPT6_ll16rocsparse_order_21rocsparse_index_base_
                                        ; -- End function
	.section	.AMDGPU.csdata,"",@progbits
; Kernel info:
; codeLenInByte = 1600
; NumSgprs: 48
; NumVgprs: 38
; NumAgprs: 0
; TotalNumVgprs: 38
; ScratchSize: 0
; MemoryBound: 0
; FloatMode: 240
; IeeeMode: 1
; LDSByteSize: 2048 bytes/workgroup (compile time only)
; SGPRBlocks: 5
; VGPRBlocks: 4
; NumSGPRsForWavesPerEU: 48
; NumVGPRsForWavesPerEU: 38
; AccumOffset: 40
; Occupancy: 8
; WaveLimiterHint : 1
; COMPUTE_PGM_RSRC2:SCRATCH_EN: 0
; COMPUTE_PGM_RSRC2:USER_SGPR: 6
; COMPUTE_PGM_RSRC2:TRAP_HANDLER: 0
; COMPUTE_PGM_RSRC2:TGID_X_EN: 1
; COMPUTE_PGM_RSRC2:TGID_Y_EN: 1
; COMPUTE_PGM_RSRC2:TGID_Z_EN: 1
; COMPUTE_PGM_RSRC2:TIDIG_COMP_CNT: 0
; COMPUTE_PGM_RSRC3_GFX90A:ACCUM_OFFSET: 9
; COMPUTE_PGM_RSRC3_GFX90A:TG_SPLIT: 0
	.section	.text._ZN9rocsparse31csrmmnn_row_split_shared_kernelILj256ELj8EfliDF16_DF16_fEEvNS_24const_host_device_scalarIT1_EES3_bbbT3_S4_llPKT2_PKS4_PKT4_PKT5_llPT6_ll16rocsparse_order_21rocsparse_index_base_,"axG",@progbits,_ZN9rocsparse31csrmmnn_row_split_shared_kernelILj256ELj8EfliDF16_DF16_fEEvNS_24const_host_device_scalarIT1_EES3_bbbT3_S4_llPKT2_PKS4_PKT4_PKT5_llPT6_ll16rocsparse_order_21rocsparse_index_base_,comdat
	.protected	_ZN9rocsparse31csrmmnn_row_split_shared_kernelILj256ELj8EfliDF16_DF16_fEEvNS_24const_host_device_scalarIT1_EES3_bbbT3_S4_llPKT2_PKS4_PKT4_PKT5_llPT6_ll16rocsparse_order_21rocsparse_index_base_ ; -- Begin function _ZN9rocsparse31csrmmnn_row_split_shared_kernelILj256ELj8EfliDF16_DF16_fEEvNS_24const_host_device_scalarIT1_EES3_bbbT3_S4_llPKT2_PKS4_PKT4_PKT5_llPT6_ll16rocsparse_order_21rocsparse_index_base_
	.globl	_ZN9rocsparse31csrmmnn_row_split_shared_kernelILj256ELj8EfliDF16_DF16_fEEvNS_24const_host_device_scalarIT1_EES3_bbbT3_S4_llPKT2_PKS4_PKT4_PKT5_llPT6_ll16rocsparse_order_21rocsparse_index_base_
	.p2align	8
	.type	_ZN9rocsparse31csrmmnn_row_split_shared_kernelILj256ELj8EfliDF16_DF16_fEEvNS_24const_host_device_scalarIT1_EES3_bbbT3_S4_llPKT2_PKS4_PKT4_PKT5_llPT6_ll16rocsparse_order_21rocsparse_index_base_,@function
_ZN9rocsparse31csrmmnn_row_split_shared_kernelILj256ELj8EfliDF16_DF16_fEEvNS_24const_host_device_scalarIT1_EES3_bbbT3_S4_llPKT2_PKS4_PKT4_PKT5_llPT6_ll16rocsparse_order_21rocsparse_index_base_: ; @_ZN9rocsparse31csrmmnn_row_split_shared_kernelILj256ELj8EfliDF16_DF16_fEEvNS_24const_host_device_scalarIT1_EES3_bbbT3_S4_llPKT2_PKS4_PKT4_PKT5_llPT6_ll16rocsparse_order_21rocsparse_index_base_
; %bb.0:
	s_load_dwordx8 s[36:43], s[4:5], 0x0
	s_waitcnt lgkmcnt(0)
	s_bitcmp1_b32 s40, 0
	s_cselect_b64 s[2:3], -1, 0
	s_xor_b64 s[0:1], s[2:3], -1
	s_and_b64 vcc, exec, s[2:3]
	s_cbranch_vccnz .LBB13_2
; %bb.1:
	s_load_dword s36, s[36:37], 0x0
.LBB13_2:
	s_andn2_b64 vcc, exec, s[0:1]
	s_cbranch_vccnz .LBB13_4
; %bb.3:
	s_load_dword s38, s[38:39], 0x0
.LBB13_4:
	s_waitcnt lgkmcnt(0)
	v_cmp_eq_f32_e64 s[0:1], s36, 0
	v_cmp_eq_f32_e64 s[2:3], s38, 1.0
	s_and_b64 s[0:1], s[0:1], s[2:3]
	s_and_b64 vcc, exec, s[0:1]
	s_cbranch_vccnz .LBB13_21
; %bb.5:
	v_lshl_or_b32 v1, s6, 8, v0
	v_lshrrev_b32_e32 v9, 3, v1
	v_cmp_gt_i32_e32 vcc, s41, v9
	s_and_saveexec_b64 s[0:1], vcc
	s_cbranch_execz .LBB13_21
; %bb.6:
	s_load_dwordx16 s[12:27], s[4:5], 0x20
	s_ashr_i32 s9, s8, 31
	v_lshlrev_b32_e32 v1, 3, v9
	s_load_dwordx2 s[10:11], s[4:5], 0x78
	v_and_b32_e32 v8, 7, v0
	s_waitcnt lgkmcnt(0)
	s_mul_i32 s1, s8, s13
	s_mul_hi_u32 s2, s8, s12
	s_mul_i32 s3, s9, s12
	s_add_i32 s1, s2, s1
	s_mul_i32 s0, s8, s12
	s_add_i32 s1, s1, s3
	s_lshl_b64 s[0:1], s[0:1], 3
	s_add_u32 s0, s16, s0
	s_addc_u32 s1, s17, s1
	global_load_dwordx4 v[2:5], v1, s[0:1]
	v_lshl_or_b32 v6, s7, 3, v8
	v_ashrrev_i32_e32 v7, 31, v6
	v_mov_b32_e32 v12, 0
	s_waitcnt vmcnt(0)
	v_cmp_lt_i64_e32 vcc, v[2:3], v[4:5]
	s_and_saveexec_b64 s[2:3], vcc
	s_cbranch_execz .LBB13_14
; %bb.7:
	v_mad_u64_u32 v[18:19], s[0:1], v6, s24, 0
	s_mul_i32 s0, s8, s27
	s_mul_hi_u32 s1, s8, s26
	s_add_i32 s0, s1, s0
	s_mul_i32 s1, s9, s26
	v_lshlrev_b32_e32 v0, 2, v0
	s_add_i32 s1, s0, s1
	s_mul_i32 s0, s8, s26
	v_mul_lo_u32 v1, v7, s24
	v_mul_lo_u32 v12, v6, s25
	v_and_b32_e32 v13, 0x3e0, v0
	s_lshl_b64 s[0:1], s[0:1], 1
	v_add3_u32 v19, v19, v12, v1
	v_lshlrev_b32_e32 v1, 2, v8
	v_or_b32_e32 v15, 0x400, v13
	s_add_u32 s0, s0, s22
	v_or_b32_e32 v14, v13, v1
	v_or_b32_e32 v16, v15, v1
	v_lshlrev_b64 v[0:1], 1, v[18:19]
	s_addc_u32 s1, s1, s23
	v_mov_b32_e32 v18, s1
	v_add_co_u32_e64 v17, s[0:1], s0, v0
	v_addc_co_u32_e64 v18, s[0:1], v18, v1, s[0:1]
	s_mul_i32 s0, s9, s14
	s_mul_i32 s1, s8, s15
	v_mov_b32_e32 v0, s14
	s_mov_b32 s6, s11
	s_add_i32 s7, s1, s0
	v_mad_u64_u32 v[0:1], s[0:1], s8, v0, v[2:3]
	v_subrev_co_u32_e32 v4, vcc, s6, v4
	v_add_u32_e32 v1, s7, v1
	v_add_co_u32_e64 v0, s[0:1], v0, v8
	v_subbrev_co_u32_e32 v5, vcc, 0, v5, vcc
	v_addc_co_u32_e64 v1, s[0:1], 0, v1, s[0:1]
	v_subrev_co_u32_e32 v10, vcc, s6, v2
	v_subrev_co_u32_e64 v2, s[0:1], s6, v0
	v_subbrev_co_u32_e32 v11, vcc, 0, v3, vcc
	v_subbrev_co_u32_e64 v3, s[0:1], 0, v1, s[0:1]
	v_lshlrev_b64 v[0:1], 2, v[2:3]
	v_mov_b32_e32 v19, s19
	v_add_co_u32_e64 v0, s[0:1], s18, v0
	v_addc_co_u32_e64 v1, s[0:1], v19, v1, s[0:1]
	v_lshlrev_b64 v[2:3], 1, v[2:3]
	v_mov_b32_e32 v19, s21
	v_add_co_u32_e64 v2, s[0:1], s20, v2
	v_mov_b32_e32 v12, 0
	v_cmp_gt_i32_e32 vcc, s42, v6
	v_addc_co_u32_e64 v3, s[0:1], v19, v3, s[0:1]
	s_mov_b64 s[6:7], 0
	s_branch .LBB13_9
.LBB13_8:                               ;   in Loop: Header=BB13_9 Depth=1
	s_or_b64 exec, exec, s[12:13]
	v_add_co_u32_e64 v10, s[0:1], 8, v10
	v_addc_co_u32_e64 v11, s[0:1], 0, v11, s[0:1]
	v_add_co_u32_e64 v0, s[0:1], 32, v0
	v_addc_co_u32_e64 v1, s[0:1], 0, v1, s[0:1]
	v_cmp_ge_i64_e64 s[0:1], v[10:11], v[4:5]
	s_or_b64 s[6:7], s[0:1], s[6:7]
	v_add_co_u32_e64 v2, s[0:1], 16, v2
	v_addc_co_u32_e64 v3, s[0:1], 0, v3, s[0:1]
	s_andn2_b64 exec, exec, s[6:7]
	s_cbranch_execz .LBB13_13
.LBB13_9:                               ; =>This Inner Loop Header: Depth=1
	v_add_co_u32_e64 v20, s[0:1], v8, v10
	v_addc_co_u32_e64 v21, s[0:1], 0, v11, s[0:1]
	v_cmp_lt_i64_e64 s[0:1], v[20:21], v[4:5]
	v_mov_b32_e32 v20, 0
	v_mov_b32_e32 v19, 0
	s_barrier
	s_and_saveexec_b64 s[12:13], s[0:1]
	s_cbranch_execz .LBB13_11
; %bb.10:                               ;   in Loop: Header=BB13_9 Depth=1
	global_load_ushort v19, v[2:3], off
	global_load_dword v20, v[0:1], off
	s_waitcnt vmcnt(1)
	v_cvt_f32_f16_e32 v19, v19
	s_waitcnt vmcnt(0)
	v_subrev_u32_e32 v20, s11, v20
.LBB13_11:                              ;   in Loop: Header=BB13_9 Depth=1
	s_or_b64 exec, exec, s[12:13]
	ds_write_b32 v14, v20
	ds_write_b32 v16, v19
	s_waitcnt lgkmcnt(0)
	s_barrier
	s_and_saveexec_b64 s[12:13], vcc
	s_cbranch_execz .LBB13_8
; %bb.12:                               ;   in Loop: Header=BB13_9 Depth=1
	ds_read_b128 v[20:23], v13
	ds_read_b128 v[24:27], v13 offset:16
	s_waitcnt lgkmcnt(1)
	v_ashrrev_i32_e32 v29, 31, v20
	v_mov_b32_e32 v28, v20
	v_lshlrev_b64 v[28:29], 1, v[28:29]
	v_add_co_u32_e64 v28, s[0:1], v17, v28
	v_ashrrev_i32_e32 v31, 31, v21
	v_mov_b32_e32 v30, v21
	v_addc_co_u32_e64 v29, s[0:1], v18, v29, s[0:1]
	v_lshlrev_b64 v[20:21], 1, v[30:31]
	v_add_co_u32_e64 v20, s[0:1], v17, v20
	v_ashrrev_i32_e32 v31, 31, v22
	v_mov_b32_e32 v30, v22
	v_addc_co_u32_e64 v21, s[0:1], v18, v21, s[0:1]
	;; [unrolled: 5-line block ×3, first 2 shown]
	v_lshlrev_b64 v[22:23], 1, v[32:33]
	v_add_co_u32_e64 v22, s[0:1], v17, v22
	s_waitcnt lgkmcnt(0)
	v_ashrrev_i32_e32 v33, 31, v24
	v_mov_b32_e32 v32, v24
	v_addc_co_u32_e64 v23, s[0:1], v18, v23, s[0:1]
	v_lshlrev_b64 v[32:33], 1, v[32:33]
	v_add_co_u32_e64 v32, s[0:1], v17, v32
	v_ashrrev_i32_e32 v35, 31, v25
	v_mov_b32_e32 v34, v25
	v_addc_co_u32_e64 v33, s[0:1], v18, v33, s[0:1]
	v_lshlrev_b64 v[24:25], 1, v[34:35]
	v_add_co_u32_e64 v24, s[0:1], v17, v24
	v_ashrrev_i32_e32 v35, 31, v26
	v_mov_b32_e32 v34, v26
	v_addc_co_u32_e64 v25, s[0:1], v18, v25, s[0:1]
	v_lshlrev_b64 v[34:35], 1, v[34:35]
	v_add_co_u32_e64 v34, s[0:1], v17, v34
	v_ashrrev_i32_e32 v37, 31, v27
	v_mov_b32_e32 v36, v27
	v_addc_co_u32_e64 v35, s[0:1], v18, v35, s[0:1]
	v_lshlrev_b64 v[26:27], 1, v[36:37]
	v_add_co_u32_e64 v26, s[0:1], v17, v26
	v_addc_co_u32_e64 v27, s[0:1], v18, v27, s[0:1]
	global_load_ushort v19, v[28:29], off
	global_load_ushort v36, v[20:21], off
	;; [unrolled: 1-line block ×8, first 2 shown]
	ds_read_b128 v[20:23], v15
	ds_read_b128 v[24:27], v15 offset:16
	s_waitcnt vmcnt(7) lgkmcnt(1)
	v_fma_mix_f32 v12, v20, v19, v12 op_sel_hi:[0,1,0]
	s_waitcnt vmcnt(6)
	v_fma_mix_f32 v12, v21, v36, v12 op_sel_hi:[0,1,0]
	s_waitcnt vmcnt(5)
	;; [unrolled: 2-line block ×3, first 2 shown]
	v_fma_mix_f32 v12, v23, v38, v12 op_sel_hi:[0,1,0]
	s_waitcnt vmcnt(3) lgkmcnt(0)
	v_fma_mix_f32 v12, v24, v39, v12 op_sel_hi:[0,1,0]
	s_waitcnt vmcnt(2)
	v_fma_mix_f32 v12, v25, v40, v12 op_sel_hi:[0,1,0]
	s_waitcnt vmcnt(1)
	;; [unrolled: 2-line block ×3, first 2 shown]
	v_fma_mix_f32 v12, v27, v42, v12 op_sel_hi:[0,1,0]
	s_branch .LBB13_8
.LBB13_13:
	s_or_b64 exec, exec, s[6:7]
.LBB13_14:
	s_or_b64 exec, exec, s[2:3]
	v_cmp_gt_i32_e32 vcc, s42, v6
	s_and_b64 exec, exec, vcc
	s_cbranch_execz .LBB13_21
; %bb.15:
	s_load_dwordx4 s[0:3], s[4:5], 0x60
	s_load_dwordx2 s[14:15], s[4:5], 0x70
	v_cmp_neq_f32_e64 s[4:5], s38, 0
	s_cmp_lg_u32 s10, 1
	s_cselect_b64 s[6:7], -1, 0
	s_and_b64 vcc, exec, s[4:5]
	v_mul_f32_e32 v0, s36, v12
	s_waitcnt lgkmcnt(0)
	s_mul_i32 s10, s8, s15
	s_mul_hi_u32 s11, s8, s14
	s_mul_i32 s12, s9, s14
	s_mul_i32 s4, s8, s14
	s_cbranch_vccz .LBB13_22
; %bb.16:
	s_add_i32 s5, s11, s10
	s_add_i32 s5, s5, s12
	s_mov_b64 s[8:9], -1
	s_and_b64 vcc, exec, s[6:7]
	s_cbranch_vccz .LBB13_18
; %bb.17:
	v_mad_u64_u32 v[2:3], s[8:9], v9, s2, 0
	v_mov_b32_e32 v4, v3
	v_mad_u64_u32 v[4:5], s[8:9], v9, s3, v[4:5]
	v_mov_b32_e32 v3, v4
	v_lshlrev_b64 v[2:3], 2, v[2:3]
	v_mov_b32_e32 v1, s1
	v_add_co_u32_e32 v4, vcc, s0, v2
	v_addc_co_u32_e32 v1, vcc, v1, v3, vcc
	v_lshlrev_b64 v[2:3], 2, v[6:7]
	v_add_co_u32_e32 v2, vcc, v4, v2
	v_addc_co_u32_e32 v1, vcc, v1, v3, vcc
	s_lshl_b64 s[8:9], s[4:5], 2
	v_mov_b32_e32 v3, s9
	v_add_co_u32_e32 v2, vcc, s8, v2
	v_addc_co_u32_e32 v3, vcc, v1, v3, vcc
	global_load_dword v1, v[2:3], off
	s_mov_b64 s[8:9], 0
	s_waitcnt vmcnt(0)
	v_fma_f32 v1, s38, v1, v0
	global_store_dword v[2:3], v1, off
.LBB13_18:
	s_andn2_b64 vcc, exec, s[8:9]
	s_cbranch_vccnz .LBB13_20
; %bb.19:
	v_mul_lo_u32 v1, v7, s2
	v_mul_lo_u32 v4, v6, s3
	v_mad_u64_u32 v[2:3], s[8:9], v6, s2, 0
	v_add3_u32 v3, v3, v4, v1
	v_lshlrev_b64 v[2:3], 2, v[2:3]
	v_mov_b32_e32 v1, s1
	v_add_co_u32_e32 v2, vcc, s0, v2
	v_addc_co_u32_e32 v1, vcc, v1, v3, vcc
	v_lshlrev_b32_e32 v3, 2, v9
	v_add_co_u32_e32 v2, vcc, v2, v3
	v_addc_co_u32_e32 v1, vcc, 0, v1, vcc
	s_lshl_b64 s[8:9], s[4:5], 2
	v_mov_b32_e32 v3, s9
	v_add_co_u32_e32 v2, vcc, s8, v2
	v_addc_co_u32_e32 v3, vcc, v1, v3, vcc
	global_load_dword v1, v[2:3], off
	s_waitcnt vmcnt(0)
	v_fma_f32 v1, s38, v1, v0
	global_store_dword v[2:3], v1, off
.LBB13_20:
	s_cbranch_execz .LBB13_23
.LBB13_21:
	s_endpgm
.LBB13_22:
.LBB13_23:
	s_add_i32 s5, s11, s10
	s_add_i32 s5, s5, s12
	s_mov_b64 s[8:9], -1
	s_and_b64 vcc, exec, s[6:7]
	s_cbranch_vccz .LBB13_25
; %bb.24:
	v_mad_u64_u32 v[2:3], s[6:7], v9, s2, 0
	v_mov_b32_e32 v4, v3
	v_mad_u64_u32 v[4:5], s[6:7], v9, s3, v[4:5]
	v_mov_b32_e32 v3, v4
	v_lshlrev_b64 v[2:3], 2, v[2:3]
	v_mov_b32_e32 v1, s1
	v_add_co_u32_e32 v4, vcc, s0, v2
	v_addc_co_u32_e32 v1, vcc, v1, v3, vcc
	v_lshlrev_b64 v[2:3], 2, v[6:7]
	v_add_co_u32_e32 v2, vcc, v4, v2
	v_addc_co_u32_e32 v1, vcc, v1, v3, vcc
	s_lshl_b64 s[6:7], s[4:5], 2
	v_mov_b32_e32 v3, s7
	v_add_co_u32_e32 v2, vcc, s6, v2
	v_addc_co_u32_e32 v3, vcc, v1, v3, vcc
	global_store_dword v[2:3], v0, off
	s_mov_b64 s[8:9], 0
.LBB13_25:
	s_andn2_b64 vcc, exec, s[8:9]
	s_cbranch_vccnz .LBB13_21
; %bb.26:
	v_mul_lo_u32 v1, v7, s2
	v_mul_lo_u32 v4, v6, s3
	v_mad_u64_u32 v[2:3], s[2:3], v6, s2, 0
	v_add3_u32 v3, v3, v4, v1
	v_lshlrev_b64 v[2:3], 2, v[2:3]
	v_mov_b32_e32 v1, s1
	v_add_co_u32_e32 v2, vcc, s0, v2
	v_addc_co_u32_e32 v1, vcc, v1, v3, vcc
	v_lshlrev_b32_e32 v3, 2, v9
	v_add_co_u32_e32 v2, vcc, v2, v3
	v_addc_co_u32_e32 v1, vcc, 0, v1, vcc
	s_lshl_b64 s[0:1], s[4:5], 2
	v_mov_b32_e32 v3, s1
	v_add_co_u32_e32 v2, vcc, s0, v2
	v_addc_co_u32_e32 v3, vcc, v1, v3, vcc
	global_store_dword v[2:3], v0, off
	s_endpgm
	.section	.rodata,"a",@progbits
	.p2align	6, 0x0
	.amdhsa_kernel _ZN9rocsparse31csrmmnn_row_split_shared_kernelILj256ELj8EfliDF16_DF16_fEEvNS_24const_host_device_scalarIT1_EES3_bbbT3_S4_llPKT2_PKS4_PKT4_PKT5_llPT6_ll16rocsparse_order_21rocsparse_index_base_
		.amdhsa_group_segment_fixed_size 2048
		.amdhsa_private_segment_fixed_size 0
		.amdhsa_kernarg_size 128
		.amdhsa_user_sgpr_count 6
		.amdhsa_user_sgpr_private_segment_buffer 1
		.amdhsa_user_sgpr_dispatch_ptr 0
		.amdhsa_user_sgpr_queue_ptr 0
		.amdhsa_user_sgpr_kernarg_segment_ptr 1
		.amdhsa_user_sgpr_dispatch_id 0
		.amdhsa_user_sgpr_flat_scratch_init 0
		.amdhsa_user_sgpr_kernarg_preload_length 0
		.amdhsa_user_sgpr_kernarg_preload_offset 0
		.amdhsa_user_sgpr_private_segment_size 0
		.amdhsa_uses_dynamic_stack 0
		.amdhsa_system_sgpr_private_segment_wavefront_offset 0
		.amdhsa_system_sgpr_workgroup_id_x 1
		.amdhsa_system_sgpr_workgroup_id_y 1
		.amdhsa_system_sgpr_workgroup_id_z 1
		.amdhsa_system_sgpr_workgroup_info 0
		.amdhsa_system_vgpr_workitem_id 0
		.amdhsa_next_free_vgpr 43
		.amdhsa_next_free_sgpr 44
		.amdhsa_accum_offset 44
		.amdhsa_reserve_vcc 1
		.amdhsa_reserve_flat_scratch 0
		.amdhsa_float_round_mode_32 0
		.amdhsa_float_round_mode_16_64 0
		.amdhsa_float_denorm_mode_32 3
		.amdhsa_float_denorm_mode_16_64 3
		.amdhsa_dx10_clamp 1
		.amdhsa_ieee_mode 1
		.amdhsa_fp16_overflow 0
		.amdhsa_tg_split 0
		.amdhsa_exception_fp_ieee_invalid_op 0
		.amdhsa_exception_fp_denorm_src 0
		.amdhsa_exception_fp_ieee_div_zero 0
		.amdhsa_exception_fp_ieee_overflow 0
		.amdhsa_exception_fp_ieee_underflow 0
		.amdhsa_exception_fp_ieee_inexact 0
		.amdhsa_exception_int_div_zero 0
	.end_amdhsa_kernel
	.section	.text._ZN9rocsparse31csrmmnn_row_split_shared_kernelILj256ELj8EfliDF16_DF16_fEEvNS_24const_host_device_scalarIT1_EES3_bbbT3_S4_llPKT2_PKS4_PKT4_PKT5_llPT6_ll16rocsparse_order_21rocsparse_index_base_,"axG",@progbits,_ZN9rocsparse31csrmmnn_row_split_shared_kernelILj256ELj8EfliDF16_DF16_fEEvNS_24const_host_device_scalarIT1_EES3_bbbT3_S4_llPKT2_PKS4_PKT4_PKT5_llPT6_ll16rocsparse_order_21rocsparse_index_base_,comdat
.Lfunc_end13:
	.size	_ZN9rocsparse31csrmmnn_row_split_shared_kernelILj256ELj8EfliDF16_DF16_fEEvNS_24const_host_device_scalarIT1_EES3_bbbT3_S4_llPKT2_PKS4_PKT4_PKT5_llPT6_ll16rocsparse_order_21rocsparse_index_base_, .Lfunc_end13-_ZN9rocsparse31csrmmnn_row_split_shared_kernelILj256ELj8EfliDF16_DF16_fEEvNS_24const_host_device_scalarIT1_EES3_bbbT3_S4_llPKT2_PKS4_PKT4_PKT5_llPT6_ll16rocsparse_order_21rocsparse_index_base_
                                        ; -- End function
	.section	.AMDGPU.csdata,"",@progbits
; Kernel info:
; codeLenInByte = 1688
; NumSgprs: 48
; NumVgprs: 43
; NumAgprs: 0
; TotalNumVgprs: 43
; ScratchSize: 0
; MemoryBound: 0
; FloatMode: 240
; IeeeMode: 1
; LDSByteSize: 2048 bytes/workgroup (compile time only)
; SGPRBlocks: 5
; VGPRBlocks: 5
; NumSGPRsForWavesPerEU: 48
; NumVGPRsForWavesPerEU: 43
; AccumOffset: 44
; Occupancy: 8
; WaveLimiterHint : 1
; COMPUTE_PGM_RSRC2:SCRATCH_EN: 0
; COMPUTE_PGM_RSRC2:USER_SGPR: 6
; COMPUTE_PGM_RSRC2:TRAP_HANDLER: 0
; COMPUTE_PGM_RSRC2:TGID_X_EN: 1
; COMPUTE_PGM_RSRC2:TGID_Y_EN: 1
; COMPUTE_PGM_RSRC2:TGID_Z_EN: 1
; COMPUTE_PGM_RSRC2:TIDIG_COMP_CNT: 0
; COMPUTE_PGM_RSRC3_GFX90A:ACCUM_OFFSET: 10
; COMPUTE_PGM_RSRC3_GFX90A:TG_SPLIT: 0
	.section	.text._ZN9rocsparse31csrmmnn_row_split_shared_kernelILj256ELj8EfllDF16_DF16_fEEvNS_24const_host_device_scalarIT1_EES3_bbbT3_S4_llPKT2_PKS4_PKT4_PKT5_llPT6_ll16rocsparse_order_21rocsparse_index_base_,"axG",@progbits,_ZN9rocsparse31csrmmnn_row_split_shared_kernelILj256ELj8EfllDF16_DF16_fEEvNS_24const_host_device_scalarIT1_EES3_bbbT3_S4_llPKT2_PKS4_PKT4_PKT5_llPT6_ll16rocsparse_order_21rocsparse_index_base_,comdat
	.protected	_ZN9rocsparse31csrmmnn_row_split_shared_kernelILj256ELj8EfllDF16_DF16_fEEvNS_24const_host_device_scalarIT1_EES3_bbbT3_S4_llPKT2_PKS4_PKT4_PKT5_llPT6_ll16rocsparse_order_21rocsparse_index_base_ ; -- Begin function _ZN9rocsparse31csrmmnn_row_split_shared_kernelILj256ELj8EfllDF16_DF16_fEEvNS_24const_host_device_scalarIT1_EES3_bbbT3_S4_llPKT2_PKS4_PKT4_PKT5_llPT6_ll16rocsparse_order_21rocsparse_index_base_
	.globl	_ZN9rocsparse31csrmmnn_row_split_shared_kernelILj256ELj8EfllDF16_DF16_fEEvNS_24const_host_device_scalarIT1_EES3_bbbT3_S4_llPKT2_PKS4_PKT4_PKT5_llPT6_ll16rocsparse_order_21rocsparse_index_base_
	.p2align	8
	.type	_ZN9rocsparse31csrmmnn_row_split_shared_kernelILj256ELj8EfllDF16_DF16_fEEvNS_24const_host_device_scalarIT1_EES3_bbbT3_S4_llPKT2_PKS4_PKT4_PKT5_llPT6_ll16rocsparse_order_21rocsparse_index_base_,@function
_ZN9rocsparse31csrmmnn_row_split_shared_kernelILj256ELj8EfllDF16_DF16_fEEvNS_24const_host_device_scalarIT1_EES3_bbbT3_S4_llPKT2_PKS4_PKT4_PKT5_llPT6_ll16rocsparse_order_21rocsparse_index_base_: ; @_ZN9rocsparse31csrmmnn_row_split_shared_kernelILj256ELj8EfllDF16_DF16_fEEvNS_24const_host_device_scalarIT1_EES3_bbbT3_S4_llPKT2_PKS4_PKT4_PKT5_llPT6_ll16rocsparse_order_21rocsparse_index_base_
; %bb.0:
	s_load_dword s0, s[4:5], 0x10
	s_load_dwordx4 s[28:31], s[4:5], 0x0
	s_waitcnt lgkmcnt(0)
	s_bitcmp1_b32 s0, 0
	s_cselect_b64 s[2:3], -1, 0
	s_xor_b64 s[0:1], s[2:3], -1
	s_and_b64 vcc, exec, s[2:3]
	s_cbranch_vccnz .LBB14_2
; %bb.1:
	s_load_dword s28, s[28:29], 0x0
.LBB14_2:
	s_andn2_b64 vcc, exec, s[0:1]
	s_cbranch_vccnz .LBB14_4
; %bb.3:
	s_load_dword s30, s[30:31], 0x0
.LBB14_4:
	s_waitcnt lgkmcnt(0)
	v_cmp_eq_f32_e64 s[0:1], s28, 0
	v_cmp_eq_f32_e64 s[2:3], s30, 1.0
	s_and_b64 s[0:1], s[0:1], s[2:3]
	s_and_b64 vcc, exec, s[0:1]
	s_cbranch_vccnz .LBB14_21
; %bb.5:
	s_load_dwordx16 s[12:27], s[4:5], 0x18
	v_lshl_or_b32 v1, s6, 8, v0
	v_lshrrev_b32_e32 v6, 3, v1
	v_mov_b32_e32 v7, 0
	s_waitcnt lgkmcnt(0)
	v_cmp_gt_i64_e32 vcc, s[12:13], v[6:7]
	s_and_saveexec_b64 s[0:1], vcc
	s_cbranch_execz .LBB14_21
; %bb.6:
	s_mul_i32 s0, s8, s17
	s_mul_hi_u32 s1, s8, s16
	s_add_i32 s1, s1, s0
	s_mul_i32 s0, s8, s16
	s_lshl_b64 s[0:1], s[0:1], 3
	s_add_u32 s0, s20, s0
	s_addc_u32 s1, s21, s1
	v_lshlrev_b32_e32 v1, 3, v6
	global_load_dwordx4 v[2:5], v1, s[0:1]
	s_load_dwordx8 s[36:43], s[4:5], 0x58
	s_load_dwordx4 s[44:47], s[4:5], 0x78
	v_and_b32_e32 v10, 7, v0
	v_lshl_or_b32 v8, s7, 3, v10
	s_mov_b32 s9, 0
	v_mov_b32_e32 v9, 0
	s_waitcnt vmcnt(0)
	v_cmp_lt_i64_e32 vcc, v[2:3], v[4:5]
	s_and_saveexec_b64 s[2:3], vcc
	s_cbranch_execz .LBB14_14
; %bb.7:
	s_waitcnt lgkmcnt(0)
	v_mad_u64_u32 v[12:13], s[0:1], v8, s36, 0
	v_mov_b32_e32 v14, v13
	v_mad_u64_u32 v[14:15], s[0:1], v8, s37, v[14:15]
	s_mul_i32 s0, s8, s39
	s_mul_hi_u32 s1, s8, s38
	s_add_i32 s1, s1, s0
	s_mul_i32 s0, s8, s38
	s_lshl_b64 s[0:1], s[0:1], 1
	s_mov_b32 s10, s47
	v_mov_b32_e32 v13, v14
	s_add_u32 s0, s0, s26
	v_subrev_co_u32_e32 v4, vcc, s10, v4
	v_lshrrev_b32_e32 v7, 3, v0
	v_mov_b32_e32 v14, 0x800
	v_lshlrev_b64 v[12:13], 1, v[12:13]
	s_addc_u32 s1, s1, s27
	v_subbrev_co_u32_e32 v5, vcc, 0, v5, vcc
	v_lshlrev_b32_e32 v11, 6, v7
	v_lshl_or_b32 v17, v7, 5, v14
	v_mov_b32_e32 v7, s1
	v_add_co_u32_e64 v19, s[0:1], s0, v12
	v_subrev_co_u32_e32 v0, vcc, s10, v2
	v_addc_co_u32_e64 v20, s[0:1], v7, v13, s[0:1]
	v_mov_b32_e32 v7, s18
	v_subbrev_co_u32_e32 v1, vcc, 0, v3, vcc
	v_mad_u64_u32 v[2:3], s[0:1], s8, v7, v[2:3]
	s_mul_i32 s0, s8, s19
	v_add_u32_e32 v3, s0, v3
	v_add_co_u32_e64 v2, s[0:1], v2, v10
	v_addc_co_u32_e64 v3, s[0:1], 0, v3, s[0:1]
	v_subrev_co_u32_e64 v12, s[0:1], s10, v2
	v_subbrev_co_u32_e64 v13, s[0:1], 0, v3, s[0:1]
	v_lshlrev_b64 v[2:3], 3, v[12:13]
	v_mov_b32_e32 v7, s23
	v_add_co_u32_e64 v2, s[0:1], s22, v2
	v_addc_co_u32_e64 v3, s[0:1], v7, v3, s[0:1]
	v_lshlrev_b64 v[12:13], 1, v[12:13]
	v_mov_b32_e32 v7, s25
	v_add_co_u32_e64 v12, s[0:1], s24, v12
	v_lshl_or_b32 v16, v10, 3, v11
	v_lshl_or_b32 v18, v10, 2, v17
	v_cmp_gt_i64_e32 vcc, s[14:15], v[8:9]
	v_addc_co_u32_e64 v13, s[0:1], v7, v13, s[0:1]
	s_mov_b64 s[4:5], 0
	v_mov_b32_e32 v7, v9
	s_branch .LBB14_9
.LBB14_8:                               ;   in Loop: Header=BB14_9 Depth=1
	s_or_b64 exec, exec, s[6:7]
	v_add_co_u32_e64 v0, s[0:1], 8, v0
	v_addc_co_u32_e64 v1, s[0:1], 0, v1, s[0:1]
	v_add_co_u32_e64 v2, s[0:1], 64, v2
	v_addc_co_u32_e64 v3, s[0:1], 0, v3, s[0:1]
	v_cmp_ge_i64_e64 s[0:1], v[0:1], v[4:5]
	s_or_b64 s[4:5], s[0:1], s[4:5]
	v_add_co_u32_e64 v12, s[0:1], 16, v12
	v_addc_co_u32_e64 v13, s[0:1], 0, v13, s[0:1]
	s_andn2_b64 exec, exec, s[4:5]
	s_cbranch_execz .LBB14_13
.LBB14_9:                               ; =>This Inner Loop Header: Depth=1
	v_add_co_u32_e64 v14, s[0:1], v10, v0
	v_addc_co_u32_e64 v15, s[0:1], 0, v1, s[0:1]
	v_cmp_lt_i64_e64 s[0:1], v[14:15], v[4:5]
	v_pk_mov_b32 v[14:15], 0, 0
	v_mov_b32_e32 v21, 0
	s_barrier
	s_and_saveexec_b64 s[6:7], s[0:1]
	s_cbranch_execz .LBB14_11
; %bb.10:                               ;   in Loop: Header=BB14_9 Depth=1
	global_load_ushort v21, v[12:13], off
	global_load_dwordx2 v[14:15], v[2:3], off
	v_mov_b32_e32 v22, s9
	s_waitcnt vmcnt(1)
	v_cvt_f32_f16_e32 v21, v21
	s_waitcnt vmcnt(0)
	v_subrev_co_u32_e64 v14, s[0:1], s10, v14
	v_subb_co_u32_e64 v15, s[0:1], v15, v22, s[0:1]
.LBB14_11:                              ;   in Loop: Header=BB14_9 Depth=1
	s_or_b64 exec, exec, s[6:7]
	ds_write_b64 v16, v[14:15]
	ds_write_b32 v18, v21
	s_waitcnt lgkmcnt(0)
	s_barrier
	s_and_saveexec_b64 s[6:7], vcc
	s_cbranch_execz .LBB14_8
; %bb.12:                               ;   in Loop: Header=BB14_9 Depth=1
	ds_read_b128 v[22:25], v11
	ds_read_b128 v[26:29], v11 offset:16
	ds_read_b128 v[30:33], v11 offset:32
	;; [unrolled: 1-line block ×3, first 2 shown]
	s_waitcnt lgkmcnt(3)
	v_lshlrev_b64 v[14:15], 1, v[22:23]
	v_add_co_u32_e64 v14, s[0:1], v19, v14
	v_addc_co_u32_e64 v15, s[0:1], v20, v15, s[0:1]
	v_lshlrev_b64 v[22:23], 1, v[24:25]
	v_add_co_u32_e64 v22, s[0:1], v19, v22
	v_addc_co_u32_e64 v23, s[0:1], v20, v23, s[0:1]
	s_waitcnt lgkmcnt(2)
	v_lshlrev_b64 v[24:25], 1, v[26:27]
	v_add_co_u32_e64 v24, s[0:1], v19, v24
	v_addc_co_u32_e64 v25, s[0:1], v20, v25, s[0:1]
	v_lshlrev_b64 v[26:27], 1, v[28:29]
	v_add_co_u32_e64 v26, s[0:1], v19, v26
	v_addc_co_u32_e64 v27, s[0:1], v20, v27, s[0:1]
	;; [unrolled: 7-line block ×4, first 2 shown]
	global_load_ushort v21, v[14:15], off
	global_load_ushort v36, v[22:23], off
	;; [unrolled: 1-line block ×8, first 2 shown]
	ds_read_b128 v[22:25], v17
	ds_read_b128 v[26:29], v17 offset:16
	s_waitcnt vmcnt(7) lgkmcnt(1)
	v_fma_mix_f32 v7, v22, v21, v7 op_sel_hi:[0,1,0]
	s_waitcnt vmcnt(6)
	v_fma_mix_f32 v7, v23, v36, v7 op_sel_hi:[0,1,0]
	s_waitcnt vmcnt(5)
	;; [unrolled: 2-line block ×3, first 2 shown]
	v_fma_mix_f32 v7, v25, v38, v7 op_sel_hi:[0,1,0]
	s_waitcnt vmcnt(3) lgkmcnt(0)
	v_fma_mix_f32 v7, v26, v39, v7 op_sel_hi:[0,1,0]
	s_waitcnt vmcnt(2)
	v_fma_mix_f32 v7, v27, v40, v7 op_sel_hi:[0,1,0]
	s_waitcnt vmcnt(1)
	;; [unrolled: 2-line block ×3, first 2 shown]
	v_fma_mix_f32 v7, v29, v42, v7 op_sel_hi:[0,1,0]
	s_branch .LBB14_8
.LBB14_13:
	s_or_b64 exec, exec, s[4:5]
.LBB14_14:
	s_or_b64 exec, exec, s[2:3]
	v_cmp_gt_i64_e32 vcc, s[14:15], v[8:9]
	s_and_b64 exec, exec, vcc
	s_cbranch_execz .LBB14_21
; %bb.15:
	v_cmp_neq_f32_e64 s[0:1], s30, 0
	s_waitcnt lgkmcnt(0)
	s_cmp_lg_u32 s46, 1
	s_cselect_b64 s[2:3], -1, 0
	s_and_b64 vcc, exec, s[0:1]
	v_mul_f32_e32 v0, s28, v7
	s_mul_i32 s6, s8, s45
	s_mul_hi_u32 s7, s8, s44
	s_mul_i32 s0, s8, s44
	s_cbranch_vccz .LBB14_22
; %bb.16:
	s_add_i32 s1, s7, s6
	s_mov_b64 s[4:5], -1
	s_and_b64 vcc, exec, s[2:3]
	s_cbranch_vccz .LBB14_18
; %bb.17:
	v_mad_u64_u32 v[2:3], s[4:5], v6, s42, 0
	v_mov_b32_e32 v4, v3
	v_mad_u64_u32 v[4:5], s[4:5], v6, s43, v[4:5]
	v_mov_b32_e32 v3, v4
	v_lshlrev_b64 v[2:3], 2, v[2:3]
	v_mov_b32_e32 v1, s41
	v_add_co_u32_e32 v4, vcc, s40, v2
	v_addc_co_u32_e32 v1, vcc, v1, v3, vcc
	v_lshlrev_b64 v[2:3], 2, v[8:9]
	v_add_co_u32_e32 v2, vcc, v4, v2
	v_addc_co_u32_e32 v1, vcc, v1, v3, vcc
	s_lshl_b64 s[4:5], s[0:1], 2
	v_mov_b32_e32 v3, s5
	v_add_co_u32_e32 v2, vcc, s4, v2
	v_addc_co_u32_e32 v3, vcc, v1, v3, vcc
	global_load_dword v1, v[2:3], off
	s_mov_b64 s[4:5], 0
	s_waitcnt vmcnt(0)
	v_fma_f32 v1, s30, v1, v0
	global_store_dword v[2:3], v1, off
.LBB14_18:
	s_andn2_b64 vcc, exec, s[4:5]
	s_cbranch_vccnz .LBB14_20
; %bb.19:
	v_mad_u64_u32 v[2:3], s[4:5], v8, s42, 0
	v_mov_b32_e32 v4, v3
	v_mad_u64_u32 v[4:5], s[4:5], v8, s43, v[4:5]
	v_mov_b32_e32 v3, v4
	v_lshlrev_b64 v[2:3], 2, v[2:3]
	v_mov_b32_e32 v1, s41
	v_add_co_u32_e32 v2, vcc, s40, v2
	v_addc_co_u32_e32 v1, vcc, v1, v3, vcc
	v_lshlrev_b32_e32 v3, 2, v6
	v_add_co_u32_e32 v2, vcc, v2, v3
	v_addc_co_u32_e32 v1, vcc, 0, v1, vcc
	s_lshl_b64 s[4:5], s[0:1], 2
	v_mov_b32_e32 v3, s5
	v_add_co_u32_e32 v2, vcc, s4, v2
	v_addc_co_u32_e32 v3, vcc, v1, v3, vcc
	global_load_dword v1, v[2:3], off
	s_waitcnt vmcnt(0)
	v_fma_f32 v1, s30, v1, v0
	global_store_dword v[2:3], v1, off
.LBB14_20:
	s_cbranch_execz .LBB14_23
.LBB14_21:
	s_endpgm
.LBB14_22:
.LBB14_23:
	s_add_i32 s1, s7, s6
	s_mov_b64 s[4:5], -1
	s_and_b64 vcc, exec, s[2:3]
	s_cbranch_vccz .LBB14_25
; %bb.24:
	v_mad_u64_u32 v[2:3], s[2:3], v6, s42, 0
	v_mov_b32_e32 v4, v3
	v_mad_u64_u32 v[4:5], s[2:3], v6, s43, v[4:5]
	v_mov_b32_e32 v3, v4
	v_lshlrev_b64 v[2:3], 2, v[2:3]
	v_mov_b32_e32 v1, s41
	v_add_co_u32_e32 v4, vcc, s40, v2
	v_addc_co_u32_e32 v1, vcc, v1, v3, vcc
	v_lshlrev_b64 v[2:3], 2, v[8:9]
	v_add_co_u32_e32 v2, vcc, v4, v2
	v_addc_co_u32_e32 v1, vcc, v1, v3, vcc
	s_lshl_b64 s[2:3], s[0:1], 2
	v_mov_b32_e32 v3, s3
	v_add_co_u32_e32 v2, vcc, s2, v2
	v_addc_co_u32_e32 v3, vcc, v1, v3, vcc
	global_store_dword v[2:3], v0, off
	s_mov_b64 s[4:5], 0
.LBB14_25:
	s_andn2_b64 vcc, exec, s[4:5]
	s_cbranch_vccnz .LBB14_21
; %bb.26:
	v_mad_u64_u32 v[2:3], s[2:3], v8, s42, 0
	v_mov_b32_e32 v4, v3
	v_mad_u64_u32 v[4:5], s[2:3], v8, s43, v[4:5]
	v_mov_b32_e32 v3, v4
	v_lshlrev_b64 v[2:3], 2, v[2:3]
	v_mov_b32_e32 v1, s41
	v_add_co_u32_e32 v2, vcc, s40, v2
	v_addc_co_u32_e32 v1, vcc, v1, v3, vcc
	v_lshlrev_b32_e32 v3, 2, v6
	v_add_co_u32_e32 v2, vcc, v2, v3
	v_addc_co_u32_e32 v1, vcc, 0, v1, vcc
	s_lshl_b64 s[0:1], s[0:1], 2
	v_mov_b32_e32 v3, s1
	v_add_co_u32_e32 v2, vcc, s0, v2
	v_addc_co_u32_e32 v3, vcc, v1, v3, vcc
	global_store_dword v[2:3], v0, off
	s_endpgm
	.section	.rodata,"a",@progbits
	.p2align	6, 0x0
	.amdhsa_kernel _ZN9rocsparse31csrmmnn_row_split_shared_kernelILj256ELj8EfllDF16_DF16_fEEvNS_24const_host_device_scalarIT1_EES3_bbbT3_S4_llPKT2_PKS4_PKT4_PKT5_llPT6_ll16rocsparse_order_21rocsparse_index_base_
		.amdhsa_group_segment_fixed_size 3072
		.amdhsa_private_segment_fixed_size 0
		.amdhsa_kernarg_size 136
		.amdhsa_user_sgpr_count 6
		.amdhsa_user_sgpr_private_segment_buffer 1
		.amdhsa_user_sgpr_dispatch_ptr 0
		.amdhsa_user_sgpr_queue_ptr 0
		.amdhsa_user_sgpr_kernarg_segment_ptr 1
		.amdhsa_user_sgpr_dispatch_id 0
		.amdhsa_user_sgpr_flat_scratch_init 0
		.amdhsa_user_sgpr_kernarg_preload_length 0
		.amdhsa_user_sgpr_kernarg_preload_offset 0
		.amdhsa_user_sgpr_private_segment_size 0
		.amdhsa_uses_dynamic_stack 0
		.amdhsa_system_sgpr_private_segment_wavefront_offset 0
		.amdhsa_system_sgpr_workgroup_id_x 1
		.amdhsa_system_sgpr_workgroup_id_y 1
		.amdhsa_system_sgpr_workgroup_id_z 1
		.amdhsa_system_sgpr_workgroup_info 0
		.amdhsa_system_vgpr_workitem_id 0
		.amdhsa_next_free_vgpr 43
		.amdhsa_next_free_sgpr 48
		.amdhsa_accum_offset 44
		.amdhsa_reserve_vcc 1
		.amdhsa_reserve_flat_scratch 0
		.amdhsa_float_round_mode_32 0
		.amdhsa_float_round_mode_16_64 0
		.amdhsa_float_denorm_mode_32 3
		.amdhsa_float_denorm_mode_16_64 3
		.amdhsa_dx10_clamp 1
		.amdhsa_ieee_mode 1
		.amdhsa_fp16_overflow 0
		.amdhsa_tg_split 0
		.amdhsa_exception_fp_ieee_invalid_op 0
		.amdhsa_exception_fp_denorm_src 0
		.amdhsa_exception_fp_ieee_div_zero 0
		.amdhsa_exception_fp_ieee_overflow 0
		.amdhsa_exception_fp_ieee_underflow 0
		.amdhsa_exception_fp_ieee_inexact 0
		.amdhsa_exception_int_div_zero 0
	.end_amdhsa_kernel
	.section	.text._ZN9rocsparse31csrmmnn_row_split_shared_kernelILj256ELj8EfllDF16_DF16_fEEvNS_24const_host_device_scalarIT1_EES3_bbbT3_S4_llPKT2_PKS4_PKT4_PKT5_llPT6_ll16rocsparse_order_21rocsparse_index_base_,"axG",@progbits,_ZN9rocsparse31csrmmnn_row_split_shared_kernelILj256ELj8EfllDF16_DF16_fEEvNS_24const_host_device_scalarIT1_EES3_bbbT3_S4_llPKT2_PKS4_PKT4_PKT5_llPT6_ll16rocsparse_order_21rocsparse_index_base_,comdat
.Lfunc_end14:
	.size	_ZN9rocsparse31csrmmnn_row_split_shared_kernelILj256ELj8EfllDF16_DF16_fEEvNS_24const_host_device_scalarIT1_EES3_bbbT3_S4_llPKT2_PKS4_PKT4_PKT5_llPT6_ll16rocsparse_order_21rocsparse_index_base_, .Lfunc_end14-_ZN9rocsparse31csrmmnn_row_split_shared_kernelILj256ELj8EfllDF16_DF16_fEEvNS_24const_host_device_scalarIT1_EES3_bbbT3_S4_llPKT2_PKS4_PKT4_PKT5_llPT6_ll16rocsparse_order_21rocsparse_index_base_
                                        ; -- End function
	.section	.AMDGPU.csdata,"",@progbits
; Kernel info:
; codeLenInByte = 1620
; NumSgprs: 52
; NumVgprs: 43
; NumAgprs: 0
; TotalNumVgprs: 43
; ScratchSize: 0
; MemoryBound: 1
; FloatMode: 240
; IeeeMode: 1
; LDSByteSize: 3072 bytes/workgroup (compile time only)
; SGPRBlocks: 6
; VGPRBlocks: 5
; NumSGPRsForWavesPerEU: 52
; NumVGPRsForWavesPerEU: 43
; AccumOffset: 44
; Occupancy: 8
; WaveLimiterHint : 0
; COMPUTE_PGM_RSRC2:SCRATCH_EN: 0
; COMPUTE_PGM_RSRC2:USER_SGPR: 6
; COMPUTE_PGM_RSRC2:TRAP_HANDLER: 0
; COMPUTE_PGM_RSRC2:TGID_X_EN: 1
; COMPUTE_PGM_RSRC2:TGID_Y_EN: 1
; COMPUTE_PGM_RSRC2:TGID_Z_EN: 1
; COMPUTE_PGM_RSRC2:TIDIG_COMP_CNT: 0
; COMPUTE_PGM_RSRC3_GFX90A:ACCUM_OFFSET: 10
; COMPUTE_PGM_RSRC3_GFX90A:TG_SPLIT: 0
	.section	.text._ZN9rocsparse31csrmmnn_row_split_shared_kernelILj256ELj8EiiiaaiEEvNS_24const_host_device_scalarIT1_EES3_bbbT3_S4_llPKT2_PKS4_PKT4_PKT5_llPT6_ll16rocsparse_order_21rocsparse_index_base_,"axG",@progbits,_ZN9rocsparse31csrmmnn_row_split_shared_kernelILj256ELj8EiiiaaiEEvNS_24const_host_device_scalarIT1_EES3_bbbT3_S4_llPKT2_PKS4_PKT4_PKT5_llPT6_ll16rocsparse_order_21rocsparse_index_base_,comdat
	.protected	_ZN9rocsparse31csrmmnn_row_split_shared_kernelILj256ELj8EiiiaaiEEvNS_24const_host_device_scalarIT1_EES3_bbbT3_S4_llPKT2_PKS4_PKT4_PKT5_llPT6_ll16rocsparse_order_21rocsparse_index_base_ ; -- Begin function _ZN9rocsparse31csrmmnn_row_split_shared_kernelILj256ELj8EiiiaaiEEvNS_24const_host_device_scalarIT1_EES3_bbbT3_S4_llPKT2_PKS4_PKT4_PKT5_llPT6_ll16rocsparse_order_21rocsparse_index_base_
	.globl	_ZN9rocsparse31csrmmnn_row_split_shared_kernelILj256ELj8EiiiaaiEEvNS_24const_host_device_scalarIT1_EES3_bbbT3_S4_llPKT2_PKS4_PKT4_PKT5_llPT6_ll16rocsparse_order_21rocsparse_index_base_
	.p2align	8
	.type	_ZN9rocsparse31csrmmnn_row_split_shared_kernelILj256ELj8EiiiaaiEEvNS_24const_host_device_scalarIT1_EES3_bbbT3_S4_llPKT2_PKS4_PKT4_PKT5_llPT6_ll16rocsparse_order_21rocsparse_index_base_,@function
_ZN9rocsparse31csrmmnn_row_split_shared_kernelILj256ELj8EiiiaaiEEvNS_24const_host_device_scalarIT1_EES3_bbbT3_S4_llPKT2_PKS4_PKT4_PKT5_llPT6_ll16rocsparse_order_21rocsparse_index_base_: ; @_ZN9rocsparse31csrmmnn_row_split_shared_kernelILj256ELj8EiiiaaiEEvNS_24const_host_device_scalarIT1_EES3_bbbT3_S4_llPKT2_PKS4_PKT4_PKT5_llPT6_ll16rocsparse_order_21rocsparse_index_base_
; %bb.0:
	s_load_dwordx8 s[24:31], s[4:5], 0x0
	s_mov_b64 s[2:3], -1
                                        ; implicit-def: $sgpr9
	s_waitcnt lgkmcnt(0)
	s_bitcmp1_b32 s28, 0
	s_cselect_b64 s[0:1], -1, 0
	s_xor_b64 s[0:1], s[0:1], -1
	s_and_b64 vcc, exec, s[0:1]
	s_cbranch_vccnz .LBB15_4
; %bb.1:
	s_andn2_b64 vcc, exec, s[2:3]
	s_cbranch_vccz .LBB15_5
.LBB15_2:
	s_and_b64 vcc, exec, s[0:1]
	s_cbranch_vccz .LBB15_6
.LBB15_3:
	s_load_dword s28, s[26:27], 0x0
	s_cbranch_execz .LBB15_7
	s_branch .LBB15_8
.LBB15_4:
	s_load_dword s9, s[24:25], 0x0
	s_cbranch_execnz .LBB15_2
.LBB15_5:
	s_waitcnt lgkmcnt(0)
	s_mov_b32 s9, s24
	s_and_b64 vcc, exec, s[0:1]
	s_cbranch_vccnz .LBB15_3
.LBB15_6:
                                        ; implicit-def: $sgpr28
.LBB15_7:
	s_waitcnt lgkmcnt(0)
	s_mov_b32 s28, s26
.LBB15_8:
	s_waitcnt lgkmcnt(0)
	s_cmp_eq_u32 s9, 0
	s_cselect_b64 s[0:1], -1, 0
	s_cmp_eq_u32 s28, 1
	s_cselect_b64 s[2:3], -1, 0
	s_and_b64 s[0:1], s[0:1], s[2:3]
	s_and_b64 vcc, exec, s[0:1]
	s_cbranch_vccnz .LBB15_25
; %bb.9:
	v_lshl_or_b32 v1, s6, 8, v0
	v_lshrrev_b32_e32 v7, 3, v1
	v_cmp_gt_i32_e32 vcc, s29, v7
	s_and_saveexec_b64 s[0:1], vcc
	s_cbranch_execz .LBB15_25
; %bb.10:
	s_load_dwordx16 s[12:27], s[4:5], 0x20
	s_ashr_i32 s29, s8, 31
	v_lshlrev_b32_e32 v6, 2, v7
	s_load_dwordx2 s[10:11], s[4:5], 0x78
	v_and_b32_e32 v8, 7, v0
	s_waitcnt lgkmcnt(0)
	s_mul_i32 s1, s8, s13
	s_mul_hi_u32 s2, s8, s12
	s_mul_i32 s3, s29, s12
	s_add_i32 s1, s2, s1
	s_mul_i32 s0, s8, s12
	s_add_i32 s1, s1, s3
	s_lshl_b64 s[0:1], s[0:1], 2
	s_add_u32 s0, s16, s0
	s_addc_u32 s1, s17, s1
	global_load_dwordx2 v[4:5], v6, s[0:1]
	v_lshl_or_b32 v2, s7, 3, v8
	v_ashrrev_i32_e32 v3, 31, v2
	v_mov_b32_e32 v11, 0
	s_waitcnt vmcnt(0)
	v_cmp_lt_i32_e32 vcc, v4, v5
	s_and_saveexec_b64 s[2:3], vcc
	s_cbranch_execz .LBB15_18
; %bb.11:
	v_lshlrev_b32_e32 v0, 2, v0
	v_and_b32_e32 v9, 0x3e0, v0
	s_mul_i32 s0, s8, s15
	s_mul_hi_u32 s1, s8, s14
	v_mov_b32_e32 v14, s22
	v_mov_b32_e32 v15, s23
	v_lshlrev_b32_e32 v1, 2, v8
	v_or_b32_e32 v12, 0x400, v9
	s_add_i32 s0, s1, s0
	s_mul_i32 s1, s29, s14
	v_or_b32_e32 v10, v9, v1
	v_or_b32_e32 v13, v12, v1
	s_add_i32 s15, s0, s1
	v_mul_lo_u32 v11, v2, s25
	v_mul_lo_u32 v16, v3, s24
	v_mad_u64_u32 v[0:1], s[0:1], v2, s24, v[14:15]
	v_add3_u32 v1, v16, v1, v11
	v_mov_b32_e32 v11, s26
	v_mad_u64_u32 v[0:1], s[0:1], s8, v11, v[0:1]
	s_mul_i32 s0, s29, s26
	s_mul_i32 s1, s8, s27
	s_add_i32 s1, s1, s0
	v_subrev_u32_e32 v5, s11, v5
	v_subrev_u32_e32 v4, s11, v4
	s_mul_i32 s14, s8, s14
	v_cmp_gt_i32_e32 vcc, s30, v2
	v_add_u32_e32 v1, s1, v1
	s_mov_b64 s[6:7], 0
	v_mov_b32_e32 v11, 0
	s_branch .LBB15_13
.LBB15_12:                              ;   in Loop: Header=BB15_13 Depth=1
	s_or_b64 exec, exec, s[12:13]
	v_add_u32_e32 v4, 8, v4
	v_cmp_ge_i32_e64 s[0:1], v4, v5
	s_or_b64 s[6:7], s[0:1], s[6:7]
	s_andn2_b64 exec, exec, s[6:7]
	s_cbranch_execz .LBB15_17
.LBB15_13:                              ; =>This Inner Loop Header: Depth=1
	v_add_u32_e32 v14, v8, v4
	v_cmp_lt_i32_e64 s[0:1], v14, v5
	v_mov_b32_e32 v16, 0
	v_mov_b32_e32 v15, 0
	s_barrier
	s_and_saveexec_b64 s[12:13], s[0:1]
	s_cbranch_execz .LBB15_15
; %bb.14:                               ;   in Loop: Header=BB15_13 Depth=1
	v_ashrrev_i32_e32 v15, 31, v14
	v_mov_b32_e32 v16, s15
	v_add_co_u32_e64 v14, s[0:1], s14, v14
	v_addc_co_u32_e64 v15, s[0:1], v16, v15, s[0:1]
	v_lshlrev_b64 v[16:17], 2, v[14:15]
	v_mov_b32_e32 v18, s19
	v_add_co_u32_e64 v16, s[0:1], s18, v16
	v_addc_co_u32_e64 v17, s[0:1], v18, v17, s[0:1]
	global_load_dword v16, v[16:17], off
	v_mov_b32_e32 v17, s21
	v_add_co_u32_e64 v14, s[0:1], s20, v14
	v_addc_co_u32_e64 v15, s[0:1], v17, v15, s[0:1]
	global_load_sbyte v15, v[14:15], off
	s_waitcnt vmcnt(1)
	v_subrev_u32_e32 v16, s11, v16
.LBB15_15:                              ;   in Loop: Header=BB15_13 Depth=1
	s_or_b64 exec, exec, s[12:13]
	ds_write_b32 v10, v16
	s_waitcnt vmcnt(0)
	ds_write_b32 v13, v15
	s_waitcnt lgkmcnt(0)
	s_barrier
	s_and_saveexec_b64 s[12:13], vcc
	s_cbranch_execz .LBB15_12
; %bb.16:                               ;   in Loop: Header=BB15_13 Depth=1
	ds_read_b128 v[14:17], v9
	ds_read_b128 v[18:21], v9 offset:16
	s_waitcnt lgkmcnt(1)
	v_ashrrev_i32_e32 v23, 31, v14
	v_add_co_u32_e64 v22, s[0:1], v0, v14
	v_addc_co_u32_e64 v23, s[0:1], v1, v23, s[0:1]
	v_ashrrev_i32_e32 v24, 31, v15
	v_add_co_u32_e64 v14, s[0:1], v0, v15
	v_addc_co_u32_e64 v15, s[0:1], v1, v24, s[0:1]
	;; [unrolled: 3-line block ×4, first 2 shown]
	s_waitcnt lgkmcnt(0)
	v_ashrrev_i32_e32 v27, 31, v18
	v_add_co_u32_e64 v26, s[0:1], v0, v18
	v_addc_co_u32_e64 v27, s[0:1], v1, v27, s[0:1]
	v_ashrrev_i32_e32 v28, 31, v19
	v_add_co_u32_e64 v18, s[0:1], v0, v19
	v_addc_co_u32_e64 v19, s[0:1], v1, v28, s[0:1]
	;; [unrolled: 3-line block ×3, first 2 shown]
	global_load_sbyte v30, v[22:23], off
	global_load_sbyte v31, v[14:15], off
	;; [unrolled: 1-line block ×7, first 2 shown]
	v_ashrrev_i32_e32 v15, 31, v21
	v_add_co_u32_e64 v14, s[0:1], v0, v21
	v_addc_co_u32_e64 v15, s[0:1], v1, v15, s[0:1]
	global_load_sbyte v22, v[14:15], off
	ds_read_b128 v[14:17], v12
	ds_read_b128 v[18:21], v12 offset:16
	s_waitcnt vmcnt(7) lgkmcnt(1)
	v_mul_lo_u32 v14, v14, v30
	s_waitcnt vmcnt(6)
	v_mul_lo_u32 v15, v15, v31
	s_waitcnt vmcnt(5)
	;; [unrolled: 2-line block ×3, first 2 shown]
	v_mul_lo_u32 v17, v17, v33
	v_add3_u32 v11, v14, v11, v15
	s_waitcnt vmcnt(3) lgkmcnt(0)
	v_mul_lo_u32 v18, v18, v34
	s_waitcnt vmcnt(2)
	v_mul_lo_u32 v19, v19, v35
	v_add3_u32 v11, v11, v16, v17
	s_waitcnt vmcnt(1)
	v_mul_lo_u32 v20, v20, v36
	v_add3_u32 v11, v11, v18, v19
	;; [unrolled: 3-line block ×3, first 2 shown]
	s_branch .LBB15_12
.LBB15_17:
	s_or_b64 exec, exec, s[6:7]
.LBB15_18:
	s_or_b64 exec, exec, s[2:3]
	v_cmp_gt_i32_e32 vcc, s30, v2
	s_and_b64 exec, exec, vcc
	s_cbranch_execz .LBB15_25
; %bb.19:
	s_load_dwordx4 s[0:3], s[4:5], 0x60
	s_load_dwordx2 s[14:15], s[4:5], 0x70
	s_cmp_lg_u32 s10, 1
	s_cselect_b64 s[6:7], -1, 0
	s_cmp_lg_u32 s28, 0
	v_mul_lo_u32 v0, v11, s9
	s_waitcnt lgkmcnt(0)
	s_mul_i32 s10, s8, s15
	s_mul_hi_u32 s11, s8, s14
	s_mul_i32 s12, s29, s14
	s_mul_i32 s4, s8, s14
	s_cbranch_scc0 .LBB15_26
; %bb.20:
	s_add_i32 s5, s11, s10
	s_add_i32 s5, s5, s12
	s_mov_b64 s[8:9], -1
	s_and_b64 vcc, exec, s[6:7]
	s_cbranch_vccz .LBB15_22
; %bb.21:
	v_mad_u64_u32 v[4:5], s[8:9], v7, s2, 0
	v_mov_b32_e32 v8, v5
	v_mad_u64_u32 v[8:9], s[8:9], v7, s3, v[8:9]
	v_mov_b32_e32 v5, v8
	v_lshlrev_b64 v[4:5], 2, v[4:5]
	v_mov_b32_e32 v1, s1
	v_add_co_u32_e32 v8, vcc, s0, v4
	v_addc_co_u32_e32 v1, vcc, v1, v5, vcc
	v_lshlrev_b64 v[4:5], 2, v[2:3]
	v_add_co_u32_e32 v4, vcc, v8, v4
	v_addc_co_u32_e32 v1, vcc, v1, v5, vcc
	s_lshl_b64 s[8:9], s[4:5], 2
	v_mov_b32_e32 v5, s9
	v_add_co_u32_e32 v4, vcc, s8, v4
	v_addc_co_u32_e32 v5, vcc, v1, v5, vcc
	global_load_dword v1, v[4:5], off
	s_waitcnt vmcnt(0)
	v_mad_u64_u32 v[8:9], s[8:9], v1, s28, v[0:1]
	global_store_dword v[4:5], v8, off
	s_mov_b64 s[8:9], 0
.LBB15_22:
	s_andn2_b64 vcc, exec, s[8:9]
	s_cbranch_vccnz .LBB15_24
; %bb.23:
	v_mul_lo_u32 v1, v3, s2
	v_mul_lo_u32 v8, v2, s3
	v_mad_u64_u32 v[4:5], s[8:9], v2, s2, 0
	v_add3_u32 v5, v5, v8, v1
	v_lshlrev_b64 v[4:5], 2, v[4:5]
	v_mov_b32_e32 v1, s1
	v_add_co_u32_e32 v4, vcc, s0, v4
	v_addc_co_u32_e32 v1, vcc, v1, v5, vcc
	v_add_co_u32_e32 v4, vcc, v4, v6
	v_addc_co_u32_e32 v1, vcc, 0, v1, vcc
	s_lshl_b64 s[8:9], s[4:5], 2
	v_mov_b32_e32 v5, s9
	v_add_co_u32_e32 v4, vcc, s8, v4
	v_addc_co_u32_e32 v5, vcc, v1, v5, vcc
	global_load_dword v1, v[4:5], off
	s_waitcnt vmcnt(0)
	v_mad_u64_u32 v[8:9], s[8:9], v1, s28, v[0:1]
	global_store_dword v[4:5], v8, off
.LBB15_24:
	s_cbranch_execz .LBB15_27
.LBB15_25:
	s_endpgm
.LBB15_26:
.LBB15_27:
	s_add_i32 s5, s11, s10
	s_add_i32 s5, s5, s12
	s_mov_b64 s[8:9], -1
	s_and_b64 vcc, exec, s[6:7]
	s_cbranch_vccz .LBB15_29
; %bb.28:
	v_mad_u64_u32 v[4:5], s[6:7], v7, s2, 0
	v_mov_b32_e32 v8, v5
	v_mad_u64_u32 v[8:9], s[6:7], v7, s3, v[8:9]
	v_mov_b32_e32 v5, v8
	v_lshlrev_b64 v[4:5], 2, v[4:5]
	v_mov_b32_e32 v1, s1
	v_add_co_u32_e32 v7, vcc, s0, v4
	v_addc_co_u32_e32 v1, vcc, v1, v5, vcc
	v_lshlrev_b64 v[4:5], 2, v[2:3]
	v_add_co_u32_e32 v4, vcc, v7, v4
	v_addc_co_u32_e32 v1, vcc, v1, v5, vcc
	s_lshl_b64 s[6:7], s[4:5], 2
	v_mov_b32_e32 v5, s7
	v_add_co_u32_e32 v4, vcc, s6, v4
	v_addc_co_u32_e32 v5, vcc, v1, v5, vcc
	global_store_dword v[4:5], v0, off
	s_mov_b64 s[8:9], 0
.LBB15_29:
	s_andn2_b64 vcc, exec, s[8:9]
	s_cbranch_vccnz .LBB15_25
; %bb.30:
	v_mul_lo_u32 v1, v3, s2
	v_mul_lo_u32 v4, v2, s3
	v_mad_u64_u32 v[2:3], s[2:3], v2, s2, 0
	v_add3_u32 v3, v3, v4, v1
	v_lshlrev_b64 v[2:3], 2, v[2:3]
	v_mov_b32_e32 v1, s1
	v_add_co_u32_e32 v2, vcc, s0, v2
	v_addc_co_u32_e32 v1, vcc, v1, v3, vcc
	v_add_co_u32_e32 v2, vcc, v2, v6
	v_addc_co_u32_e32 v1, vcc, 0, v1, vcc
	s_lshl_b64 s[0:1], s[4:5], 2
	v_mov_b32_e32 v3, s1
	v_add_co_u32_e32 v2, vcc, s0, v2
	v_addc_co_u32_e32 v3, vcc, v1, v3, vcc
	global_store_dword v[2:3], v0, off
	s_endpgm
	.section	.rodata,"a",@progbits
	.p2align	6, 0x0
	.amdhsa_kernel _ZN9rocsparse31csrmmnn_row_split_shared_kernelILj256ELj8EiiiaaiEEvNS_24const_host_device_scalarIT1_EES3_bbbT3_S4_llPKT2_PKS4_PKT4_PKT5_llPT6_ll16rocsparse_order_21rocsparse_index_base_
		.amdhsa_group_segment_fixed_size 2048
		.amdhsa_private_segment_fixed_size 0
		.amdhsa_kernarg_size 128
		.amdhsa_user_sgpr_count 6
		.amdhsa_user_sgpr_private_segment_buffer 1
		.amdhsa_user_sgpr_dispatch_ptr 0
		.amdhsa_user_sgpr_queue_ptr 0
		.amdhsa_user_sgpr_kernarg_segment_ptr 1
		.amdhsa_user_sgpr_dispatch_id 0
		.amdhsa_user_sgpr_flat_scratch_init 0
		.amdhsa_user_sgpr_kernarg_preload_length 0
		.amdhsa_user_sgpr_kernarg_preload_offset 0
		.amdhsa_user_sgpr_private_segment_size 0
		.amdhsa_uses_dynamic_stack 0
		.amdhsa_system_sgpr_private_segment_wavefront_offset 0
		.amdhsa_system_sgpr_workgroup_id_x 1
		.amdhsa_system_sgpr_workgroup_id_y 1
		.amdhsa_system_sgpr_workgroup_id_z 1
		.amdhsa_system_sgpr_workgroup_info 0
		.amdhsa_system_vgpr_workitem_id 0
		.amdhsa_next_free_vgpr 37
		.amdhsa_next_free_sgpr 32
		.amdhsa_accum_offset 40
		.amdhsa_reserve_vcc 1
		.amdhsa_reserve_flat_scratch 0
		.amdhsa_float_round_mode_32 0
		.amdhsa_float_round_mode_16_64 0
		.amdhsa_float_denorm_mode_32 3
		.amdhsa_float_denorm_mode_16_64 3
		.amdhsa_dx10_clamp 1
		.amdhsa_ieee_mode 1
		.amdhsa_fp16_overflow 0
		.amdhsa_tg_split 0
		.amdhsa_exception_fp_ieee_invalid_op 0
		.amdhsa_exception_fp_denorm_src 0
		.amdhsa_exception_fp_ieee_div_zero 0
		.amdhsa_exception_fp_ieee_overflow 0
		.amdhsa_exception_fp_ieee_underflow 0
		.amdhsa_exception_fp_ieee_inexact 0
		.amdhsa_exception_int_div_zero 0
	.end_amdhsa_kernel
	.section	.text._ZN9rocsparse31csrmmnn_row_split_shared_kernelILj256ELj8EiiiaaiEEvNS_24const_host_device_scalarIT1_EES3_bbbT3_S4_llPKT2_PKS4_PKT4_PKT5_llPT6_ll16rocsparse_order_21rocsparse_index_base_,"axG",@progbits,_ZN9rocsparse31csrmmnn_row_split_shared_kernelILj256ELj8EiiiaaiEEvNS_24const_host_device_scalarIT1_EES3_bbbT3_S4_llPKT2_PKS4_PKT4_PKT5_llPT6_ll16rocsparse_order_21rocsparse_index_base_,comdat
.Lfunc_end15:
	.size	_ZN9rocsparse31csrmmnn_row_split_shared_kernelILj256ELj8EiiiaaiEEvNS_24const_host_device_scalarIT1_EES3_bbbT3_S4_llPKT2_PKS4_PKT4_PKT5_llPT6_ll16rocsparse_order_21rocsparse_index_base_, .Lfunc_end15-_ZN9rocsparse31csrmmnn_row_split_shared_kernelILj256ELj8EiiiaaiEEvNS_24const_host_device_scalarIT1_EES3_bbbT3_S4_llPKT2_PKS4_PKT4_PKT5_llPT6_ll16rocsparse_order_21rocsparse_index_base_
                                        ; -- End function
	.section	.AMDGPU.csdata,"",@progbits
; Kernel info:
; codeLenInByte = 1540
; NumSgprs: 36
; NumVgprs: 37
; NumAgprs: 0
; TotalNumVgprs: 37
; ScratchSize: 0
; MemoryBound: 0
; FloatMode: 240
; IeeeMode: 1
; LDSByteSize: 2048 bytes/workgroup (compile time only)
; SGPRBlocks: 4
; VGPRBlocks: 4
; NumSGPRsForWavesPerEU: 36
; NumVGPRsForWavesPerEU: 37
; AccumOffset: 40
; Occupancy: 8
; WaveLimiterHint : 1
; COMPUTE_PGM_RSRC2:SCRATCH_EN: 0
; COMPUTE_PGM_RSRC2:USER_SGPR: 6
; COMPUTE_PGM_RSRC2:TRAP_HANDLER: 0
; COMPUTE_PGM_RSRC2:TGID_X_EN: 1
; COMPUTE_PGM_RSRC2:TGID_Y_EN: 1
; COMPUTE_PGM_RSRC2:TGID_Z_EN: 1
; COMPUTE_PGM_RSRC2:TIDIG_COMP_CNT: 0
; COMPUTE_PGM_RSRC3_GFX90A:ACCUM_OFFSET: 9
; COMPUTE_PGM_RSRC3_GFX90A:TG_SPLIT: 0
	.section	.text._ZN9rocsparse31csrmmnn_row_split_shared_kernelILj256ELj8EiliaaiEEvNS_24const_host_device_scalarIT1_EES3_bbbT3_S4_llPKT2_PKS4_PKT4_PKT5_llPT6_ll16rocsparse_order_21rocsparse_index_base_,"axG",@progbits,_ZN9rocsparse31csrmmnn_row_split_shared_kernelILj256ELj8EiliaaiEEvNS_24const_host_device_scalarIT1_EES3_bbbT3_S4_llPKT2_PKS4_PKT4_PKT5_llPT6_ll16rocsparse_order_21rocsparse_index_base_,comdat
	.protected	_ZN9rocsparse31csrmmnn_row_split_shared_kernelILj256ELj8EiliaaiEEvNS_24const_host_device_scalarIT1_EES3_bbbT3_S4_llPKT2_PKS4_PKT4_PKT5_llPT6_ll16rocsparse_order_21rocsparse_index_base_ ; -- Begin function _ZN9rocsparse31csrmmnn_row_split_shared_kernelILj256ELj8EiliaaiEEvNS_24const_host_device_scalarIT1_EES3_bbbT3_S4_llPKT2_PKS4_PKT4_PKT5_llPT6_ll16rocsparse_order_21rocsparse_index_base_
	.globl	_ZN9rocsparse31csrmmnn_row_split_shared_kernelILj256ELj8EiliaaiEEvNS_24const_host_device_scalarIT1_EES3_bbbT3_S4_llPKT2_PKS4_PKT4_PKT5_llPT6_ll16rocsparse_order_21rocsparse_index_base_
	.p2align	8
	.type	_ZN9rocsparse31csrmmnn_row_split_shared_kernelILj256ELj8EiliaaiEEvNS_24const_host_device_scalarIT1_EES3_bbbT3_S4_llPKT2_PKS4_PKT4_PKT5_llPT6_ll16rocsparse_order_21rocsparse_index_base_,@function
_ZN9rocsparse31csrmmnn_row_split_shared_kernelILj256ELj8EiliaaiEEvNS_24const_host_device_scalarIT1_EES3_bbbT3_S4_llPKT2_PKS4_PKT4_PKT5_llPT6_ll16rocsparse_order_21rocsparse_index_base_: ; @_ZN9rocsparse31csrmmnn_row_split_shared_kernelILj256ELj8EiliaaiEEvNS_24const_host_device_scalarIT1_EES3_bbbT3_S4_llPKT2_PKS4_PKT4_PKT5_llPT6_ll16rocsparse_order_21rocsparse_index_base_
; %bb.0:
	s_load_dwordx8 s[24:31], s[4:5], 0x0
	s_mov_b64 s[2:3], -1
                                        ; implicit-def: $sgpr9
	s_waitcnt lgkmcnt(0)
	s_bitcmp1_b32 s28, 0
	s_cselect_b64 s[0:1], -1, 0
	s_xor_b64 s[0:1], s[0:1], -1
	s_and_b64 vcc, exec, s[0:1]
	s_cbranch_vccnz .LBB16_4
; %bb.1:
	s_andn2_b64 vcc, exec, s[2:3]
	s_cbranch_vccz .LBB16_5
.LBB16_2:
	s_and_b64 vcc, exec, s[0:1]
	s_cbranch_vccz .LBB16_6
.LBB16_3:
	s_load_dword s28, s[26:27], 0x0
	s_cbranch_execz .LBB16_7
	s_branch .LBB16_8
.LBB16_4:
	s_load_dword s9, s[24:25], 0x0
	s_cbranch_execnz .LBB16_2
.LBB16_5:
	s_waitcnt lgkmcnt(0)
	s_mov_b32 s9, s24
	s_and_b64 vcc, exec, s[0:1]
	s_cbranch_vccnz .LBB16_3
.LBB16_6:
                                        ; implicit-def: $sgpr28
.LBB16_7:
	s_waitcnt lgkmcnt(0)
	s_mov_b32 s28, s26
.LBB16_8:
	s_waitcnt lgkmcnt(0)
	s_cmp_eq_u32 s9, 0
	s_cselect_b64 s[0:1], -1, 0
	s_cmp_eq_u32 s28, 1
	s_cselect_b64 s[2:3], -1, 0
	s_and_b64 s[0:1], s[0:1], s[2:3]
	s_and_b64 vcc, exec, s[0:1]
	s_cbranch_vccnz .LBB16_25
; %bb.9:
	v_lshl_or_b32 v1, s6, 8, v0
	v_lshrrev_b32_e32 v9, 3, v1
	v_cmp_gt_i32_e32 vcc, s29, v9
	s_and_saveexec_b64 s[0:1], vcc
	s_cbranch_execz .LBB16_25
; %bb.10:
	s_load_dwordx16 s[12:27], s[4:5], 0x20
	s_ashr_i32 s29, s8, 31
	v_lshlrev_b32_e32 v1, 3, v9
	s_load_dwordx2 s[10:11], s[4:5], 0x78
	v_and_b32_e32 v8, 7, v0
	s_waitcnt lgkmcnt(0)
	s_mul_i32 s1, s8, s13
	s_mul_hi_u32 s2, s8, s12
	s_mul_i32 s3, s29, s12
	s_add_i32 s1, s2, s1
	s_mul_i32 s0, s8, s12
	s_add_i32 s1, s1, s3
	s_lshl_b64 s[0:1], s[0:1], 3
	s_add_u32 s0, s16, s0
	s_addc_u32 s1, s17, s1
	global_load_dwordx4 v[2:5], v1, s[0:1]
	v_lshl_or_b32 v6, s7, 3, v8
	v_ashrrev_i32_e32 v7, 31, v6
	v_mov_b32_e32 v12, 0
	s_waitcnt vmcnt(0)
	v_cmp_lt_i64_e32 vcc, v[2:3], v[4:5]
	s_and_saveexec_b64 s[2:3], vcc
	s_cbranch_execz .LBB16_18
; %bb.11:
	v_lshlrev_b32_e32 v0, 2, v0
	v_and_b32_e32 v13, 0x3e0, v0
	s_mul_i32 s1, s29, s14
	s_mul_i32 s7, s8, s15
	v_mov_b32_e32 v18, s22
	v_mov_b32_e32 v19, s23
	v_lshlrev_b32_e32 v1, 2, v8
	v_or_b32_e32 v15, 0x400, v13
	s_mul_hi_u32 s0, s8, s14
	s_add_i32 s7, s7, s1
	v_or_b32_e32 v14, v13, v1
	v_or_b32_e32 v16, v15, v1
	s_add_i32 s12, s7, s0
	v_mul_lo_u32 v17, v6, s25
	v_mul_lo_u32 v20, v7, s24
	v_mad_u64_u32 v[0:1], s[0:1], v6, s24, v[18:19]
	s_mov_b32 s6, s11
	v_add3_u32 v1, v20, v1, v17
	v_mov_b32_e32 v17, s26
	v_subrev_co_u32_e32 v4, vcc, s6, v4
	v_mad_u64_u32 v[0:1], s[0:1], s8, v17, v[0:1]
	v_subbrev_co_u32_e32 v5, vcc, 0, v5, vcc
	s_mul_i32 s0, s29, s26
	s_mul_i32 s1, s8, s27
	v_subrev_co_u32_e32 v10, vcc, s6, v2
	s_add_i32 s1, s1, s0
	v_mov_b32_e32 v17, s14
	v_subbrev_co_u32_e32 v11, vcc, 0, v3, vcc
	v_add_u32_e32 v1, s1, v1
	v_mad_u64_u32 v[2:3], s[0:1], s8, v17, v[2:3]
	v_add_u32_e32 v3, s7, v3
	v_add_co_u32_e64 v2, s[0:1], v2, v8
	v_addc_co_u32_e64 v3, s[0:1], 0, v3, s[0:1]
	v_subrev_co_u32_e64 v2, s[0:1], s6, v2
	v_subbrev_co_u32_e64 v3, s[0:1], 0, v3, s[0:1]
	v_lshlrev_b64 v[2:3], 2, v[2:3]
	v_mov_b32_e32 v17, s19
	v_add_co_u32_e64 v2, s[0:1], s18, v2
	s_mul_i32 s13, s8, s14
	v_addc_co_u32_e64 v3, s[0:1], v17, v3, s[0:1]
	s_add_u32 s0, s20, s13
	s_addc_u32 s1, s21, s12
	v_mov_b32_e32 v18, s1
	v_add_co_u32_e64 v17, s[0:1], s0, v8
	v_mov_b32_e32 v12, 0
	v_cmp_gt_i32_e32 vcc, s30, v6
	v_addc_co_u32_e64 v18, s[0:1], 0, v18, s[0:1]
	s_mov_b64 s[6:7], 0
	s_branch .LBB16_13
.LBB16_12:                              ;   in Loop: Header=BB16_13 Depth=1
	s_or_b64 exec, exec, s[12:13]
	v_add_co_u32_e64 v10, s[0:1], 8, v10
	v_addc_co_u32_e64 v11, s[0:1], 0, v11, s[0:1]
	v_cmp_ge_i64_e64 s[0:1], v[10:11], v[4:5]
	s_or_b64 s[6:7], s[0:1], s[6:7]
	v_add_co_u32_e64 v2, s[0:1], 32, v2
	v_addc_co_u32_e64 v3, s[0:1], 0, v3, s[0:1]
	s_andn2_b64 exec, exec, s[6:7]
	s_cbranch_execz .LBB16_17
.LBB16_13:                              ; =>This Inner Loop Header: Depth=1
	v_add_co_u32_e64 v20, s[0:1], v8, v10
	v_addc_co_u32_e64 v21, s[0:1], 0, v11, s[0:1]
	v_cmp_lt_i64_e64 s[0:1], v[20:21], v[4:5]
	v_mov_b32_e32 v20, 0
	v_mov_b32_e32 v19, 0
	s_barrier
	s_and_saveexec_b64 s[12:13], s[0:1]
	s_cbranch_execz .LBB16_15
; %bb.14:                               ;   in Loop: Header=BB16_13 Depth=1
	v_add_co_u32_e64 v20, s[0:1], v17, v10
	global_load_dword v22, v[2:3], off
	v_addc_co_u32_e64 v21, s[0:1], v18, v11, s[0:1]
	global_load_sbyte v19, v[20:21], off
	s_waitcnt vmcnt(1)
	v_subrev_u32_e32 v20, s11, v22
.LBB16_15:                              ;   in Loop: Header=BB16_13 Depth=1
	s_or_b64 exec, exec, s[12:13]
	ds_write_b32 v14, v20
	s_waitcnt vmcnt(0)
	ds_write_b32 v16, v19
	s_waitcnt lgkmcnt(0)
	s_barrier
	s_and_saveexec_b64 s[12:13], vcc
	s_cbranch_execz .LBB16_12
; %bb.16:                               ;   in Loop: Header=BB16_13 Depth=1
	ds_read_b128 v[20:23], v13
	ds_read_b128 v[24:27], v13 offset:16
	s_waitcnt lgkmcnt(1)
	v_ashrrev_i32_e32 v19, 31, v20
	v_add_co_u32_e64 v28, s[0:1], v0, v20
	v_addc_co_u32_e64 v29, s[0:1], v1, v19, s[0:1]
	v_ashrrev_i32_e32 v19, 31, v21
	v_add_co_u32_e64 v20, s[0:1], v0, v21
	v_addc_co_u32_e64 v21, s[0:1], v1, v19, s[0:1]
	;; [unrolled: 3-line block ×4, first 2 shown]
	s_waitcnt lgkmcnt(0)
	v_ashrrev_i32_e32 v19, 31, v24
	v_add_co_u32_e64 v32, s[0:1], v0, v24
	v_addc_co_u32_e64 v33, s[0:1], v1, v19, s[0:1]
	v_ashrrev_i32_e32 v19, 31, v25
	v_add_co_u32_e64 v24, s[0:1], v0, v25
	v_addc_co_u32_e64 v25, s[0:1], v1, v19, s[0:1]
	;; [unrolled: 3-line block ×3, first 2 shown]
	global_load_sbyte v19, v[28:29], off
	global_load_sbyte v36, v[20:21], off
	;; [unrolled: 1-line block ×7, first 2 shown]
	v_ashrrev_i32_e32 v21, 31, v27
	v_add_co_u32_e64 v20, s[0:1], v0, v27
	v_addc_co_u32_e64 v21, s[0:1], v1, v21, s[0:1]
	global_load_sbyte v28, v[20:21], off
	ds_read_b128 v[20:23], v15
	ds_read_b128 v[24:27], v15 offset:16
	s_waitcnt vmcnt(7) lgkmcnt(1)
	v_mul_lo_u32 v19, v20, v19
	s_waitcnt vmcnt(6)
	v_mul_lo_u32 v20, v21, v36
	s_waitcnt vmcnt(5)
	;; [unrolled: 2-line block ×3, first 2 shown]
	v_mul_lo_u32 v22, v23, v38
	v_add3_u32 v12, v19, v12, v20
	s_waitcnt vmcnt(3) lgkmcnt(0)
	v_mul_lo_u32 v23, v24, v39
	s_waitcnt vmcnt(2)
	v_mul_lo_u32 v24, v25, v40
	v_add3_u32 v12, v12, v21, v22
	s_waitcnt vmcnt(1)
	v_mul_lo_u32 v25, v26, v41
	v_add3_u32 v12, v12, v23, v24
	;; [unrolled: 3-line block ×3, first 2 shown]
	s_branch .LBB16_12
.LBB16_17:
	s_or_b64 exec, exec, s[6:7]
.LBB16_18:
	s_or_b64 exec, exec, s[2:3]
	v_cmp_gt_i32_e32 vcc, s30, v6
	s_and_b64 exec, exec, vcc
	s_cbranch_execz .LBB16_25
; %bb.19:
	s_load_dwordx4 s[0:3], s[4:5], 0x60
	s_load_dwordx2 s[14:15], s[4:5], 0x70
	s_cmp_lg_u32 s10, 1
	s_cselect_b64 s[6:7], -1, 0
	s_cmp_lg_u32 s28, 0
	v_mul_lo_u32 v0, v12, s9
	s_waitcnt lgkmcnt(0)
	s_mul_i32 s10, s8, s15
	s_mul_hi_u32 s11, s8, s14
	s_mul_i32 s12, s29, s14
	s_mul_i32 s4, s8, s14
	s_cbranch_scc0 .LBB16_26
; %bb.20:
	s_add_i32 s5, s11, s10
	s_add_i32 s5, s5, s12
	s_mov_b64 s[8:9], -1
	s_and_b64 vcc, exec, s[6:7]
	s_cbranch_vccz .LBB16_22
; %bb.21:
	v_mad_u64_u32 v[2:3], s[8:9], v9, s2, 0
	v_mov_b32_e32 v4, v3
	v_mad_u64_u32 v[4:5], s[8:9], v9, s3, v[4:5]
	v_mov_b32_e32 v3, v4
	v_lshlrev_b64 v[2:3], 2, v[2:3]
	v_mov_b32_e32 v1, s1
	v_add_co_u32_e32 v4, vcc, s0, v2
	v_addc_co_u32_e32 v1, vcc, v1, v3, vcc
	v_lshlrev_b64 v[2:3], 2, v[6:7]
	v_add_co_u32_e32 v2, vcc, v4, v2
	v_addc_co_u32_e32 v1, vcc, v1, v3, vcc
	s_lshl_b64 s[8:9], s[4:5], 2
	v_mov_b32_e32 v3, s9
	v_add_co_u32_e32 v2, vcc, s8, v2
	v_addc_co_u32_e32 v3, vcc, v1, v3, vcc
	global_load_dword v1, v[2:3], off
	s_waitcnt vmcnt(0)
	v_mad_u64_u32 v[4:5], s[8:9], v1, s28, v[0:1]
	global_store_dword v[2:3], v4, off
	s_mov_b64 s[8:9], 0
.LBB16_22:
	s_andn2_b64 vcc, exec, s[8:9]
	s_cbranch_vccnz .LBB16_24
; %bb.23:
	v_mul_lo_u32 v1, v7, s2
	v_mul_lo_u32 v4, v6, s3
	v_mad_u64_u32 v[2:3], s[8:9], v6, s2, 0
	v_add3_u32 v3, v3, v4, v1
	v_lshlrev_b64 v[2:3], 2, v[2:3]
	v_mov_b32_e32 v1, s1
	v_add_co_u32_e32 v2, vcc, s0, v2
	v_addc_co_u32_e32 v1, vcc, v1, v3, vcc
	v_lshlrev_b32_e32 v3, 2, v9
	v_add_co_u32_e32 v2, vcc, v2, v3
	v_addc_co_u32_e32 v1, vcc, 0, v1, vcc
	s_lshl_b64 s[8:9], s[4:5], 2
	v_mov_b32_e32 v3, s9
	v_add_co_u32_e32 v2, vcc, s8, v2
	v_addc_co_u32_e32 v3, vcc, v1, v3, vcc
	global_load_dword v1, v[2:3], off
	s_waitcnt vmcnt(0)
	v_mad_u64_u32 v[4:5], s[8:9], v1, s28, v[0:1]
	global_store_dword v[2:3], v4, off
.LBB16_24:
	s_cbranch_execz .LBB16_27
.LBB16_25:
	s_endpgm
.LBB16_26:
.LBB16_27:
	s_add_i32 s5, s11, s10
	s_add_i32 s5, s5, s12
	s_mov_b64 s[8:9], -1
	s_and_b64 vcc, exec, s[6:7]
	s_cbranch_vccz .LBB16_29
; %bb.28:
	v_mad_u64_u32 v[2:3], s[6:7], v9, s2, 0
	v_mov_b32_e32 v4, v3
	v_mad_u64_u32 v[4:5], s[6:7], v9, s3, v[4:5]
	v_mov_b32_e32 v3, v4
	v_lshlrev_b64 v[2:3], 2, v[2:3]
	v_mov_b32_e32 v1, s1
	v_add_co_u32_e32 v4, vcc, s0, v2
	v_addc_co_u32_e32 v1, vcc, v1, v3, vcc
	v_lshlrev_b64 v[2:3], 2, v[6:7]
	v_add_co_u32_e32 v2, vcc, v4, v2
	v_addc_co_u32_e32 v1, vcc, v1, v3, vcc
	s_lshl_b64 s[6:7], s[4:5], 2
	v_mov_b32_e32 v3, s7
	v_add_co_u32_e32 v2, vcc, s6, v2
	v_addc_co_u32_e32 v3, vcc, v1, v3, vcc
	global_store_dword v[2:3], v0, off
	s_mov_b64 s[8:9], 0
.LBB16_29:
	s_andn2_b64 vcc, exec, s[8:9]
	s_cbranch_vccnz .LBB16_25
; %bb.30:
	v_mul_lo_u32 v1, v7, s2
	v_mul_lo_u32 v4, v6, s3
	v_mad_u64_u32 v[2:3], s[2:3], v6, s2, 0
	v_add3_u32 v3, v3, v4, v1
	v_lshlrev_b64 v[2:3], 2, v[2:3]
	v_mov_b32_e32 v1, s1
	v_add_co_u32_e32 v2, vcc, s0, v2
	v_addc_co_u32_e32 v1, vcc, v1, v3, vcc
	v_lshlrev_b32_e32 v3, 2, v9
	v_add_co_u32_e32 v2, vcc, v2, v3
	v_addc_co_u32_e32 v1, vcc, 0, v1, vcc
	s_lshl_b64 s[0:1], s[4:5], 2
	v_mov_b32_e32 v3, s1
	v_add_co_u32_e32 v2, vcc, s0, v2
	v_addc_co_u32_e32 v3, vcc, v1, v3, vcc
	global_store_dword v[2:3], v0, off
	s_endpgm
	.section	.rodata,"a",@progbits
	.p2align	6, 0x0
	.amdhsa_kernel _ZN9rocsparse31csrmmnn_row_split_shared_kernelILj256ELj8EiliaaiEEvNS_24const_host_device_scalarIT1_EES3_bbbT3_S4_llPKT2_PKS4_PKT4_PKT5_llPT6_ll16rocsparse_order_21rocsparse_index_base_
		.amdhsa_group_segment_fixed_size 2048
		.amdhsa_private_segment_fixed_size 0
		.amdhsa_kernarg_size 128
		.amdhsa_user_sgpr_count 6
		.amdhsa_user_sgpr_private_segment_buffer 1
		.amdhsa_user_sgpr_dispatch_ptr 0
		.amdhsa_user_sgpr_queue_ptr 0
		.amdhsa_user_sgpr_kernarg_segment_ptr 1
		.amdhsa_user_sgpr_dispatch_id 0
		.amdhsa_user_sgpr_flat_scratch_init 0
		.amdhsa_user_sgpr_kernarg_preload_length 0
		.amdhsa_user_sgpr_kernarg_preload_offset 0
		.amdhsa_user_sgpr_private_segment_size 0
		.amdhsa_uses_dynamic_stack 0
		.amdhsa_system_sgpr_private_segment_wavefront_offset 0
		.amdhsa_system_sgpr_workgroup_id_x 1
		.amdhsa_system_sgpr_workgroup_id_y 1
		.amdhsa_system_sgpr_workgroup_id_z 1
		.amdhsa_system_sgpr_workgroup_info 0
		.amdhsa_system_vgpr_workitem_id 0
		.amdhsa_next_free_vgpr 42
		.amdhsa_next_free_sgpr 32
		.amdhsa_accum_offset 44
		.amdhsa_reserve_vcc 1
		.amdhsa_reserve_flat_scratch 0
		.amdhsa_float_round_mode_32 0
		.amdhsa_float_round_mode_16_64 0
		.amdhsa_float_denorm_mode_32 3
		.amdhsa_float_denorm_mode_16_64 3
		.amdhsa_dx10_clamp 1
		.amdhsa_ieee_mode 1
		.amdhsa_fp16_overflow 0
		.amdhsa_tg_split 0
		.amdhsa_exception_fp_ieee_invalid_op 0
		.amdhsa_exception_fp_denorm_src 0
		.amdhsa_exception_fp_ieee_div_zero 0
		.amdhsa_exception_fp_ieee_overflow 0
		.amdhsa_exception_fp_ieee_underflow 0
		.amdhsa_exception_fp_ieee_inexact 0
		.amdhsa_exception_int_div_zero 0
	.end_amdhsa_kernel
	.section	.text._ZN9rocsparse31csrmmnn_row_split_shared_kernelILj256ELj8EiliaaiEEvNS_24const_host_device_scalarIT1_EES3_bbbT3_S4_llPKT2_PKS4_PKT4_PKT5_llPT6_ll16rocsparse_order_21rocsparse_index_base_,"axG",@progbits,_ZN9rocsparse31csrmmnn_row_split_shared_kernelILj256ELj8EiliaaiEEvNS_24const_host_device_scalarIT1_EES3_bbbT3_S4_llPKT2_PKS4_PKT4_PKT5_llPT6_ll16rocsparse_order_21rocsparse_index_base_,comdat
.Lfunc_end16:
	.size	_ZN9rocsparse31csrmmnn_row_split_shared_kernelILj256ELj8EiliaaiEEvNS_24const_host_device_scalarIT1_EES3_bbbT3_S4_llPKT2_PKS4_PKT4_PKT5_llPT6_ll16rocsparse_order_21rocsparse_index_base_, .Lfunc_end16-_ZN9rocsparse31csrmmnn_row_split_shared_kernelILj256ELj8EiliaaiEEvNS_24const_host_device_scalarIT1_EES3_bbbT3_S4_llPKT2_PKS4_PKT4_PKT5_llPT6_ll16rocsparse_order_21rocsparse_index_base_
                                        ; -- End function
	.section	.AMDGPU.csdata,"",@progbits
; Kernel info:
; codeLenInByte = 1648
; NumSgprs: 36
; NumVgprs: 42
; NumAgprs: 0
; TotalNumVgprs: 42
; ScratchSize: 0
; MemoryBound: 0
; FloatMode: 240
; IeeeMode: 1
; LDSByteSize: 2048 bytes/workgroup (compile time only)
; SGPRBlocks: 4
; VGPRBlocks: 5
; NumSGPRsForWavesPerEU: 36
; NumVGPRsForWavesPerEU: 42
; AccumOffset: 44
; Occupancy: 8
; WaveLimiterHint : 1
; COMPUTE_PGM_RSRC2:SCRATCH_EN: 0
; COMPUTE_PGM_RSRC2:USER_SGPR: 6
; COMPUTE_PGM_RSRC2:TRAP_HANDLER: 0
; COMPUTE_PGM_RSRC2:TGID_X_EN: 1
; COMPUTE_PGM_RSRC2:TGID_Y_EN: 1
; COMPUTE_PGM_RSRC2:TGID_Z_EN: 1
; COMPUTE_PGM_RSRC2:TIDIG_COMP_CNT: 0
; COMPUTE_PGM_RSRC3_GFX90A:ACCUM_OFFSET: 10
; COMPUTE_PGM_RSRC3_GFX90A:TG_SPLIT: 0
	.section	.text._ZN9rocsparse31csrmmnn_row_split_shared_kernelILj256ELj8EillaaiEEvNS_24const_host_device_scalarIT1_EES3_bbbT3_S4_llPKT2_PKS4_PKT4_PKT5_llPT6_ll16rocsparse_order_21rocsparse_index_base_,"axG",@progbits,_ZN9rocsparse31csrmmnn_row_split_shared_kernelILj256ELj8EillaaiEEvNS_24const_host_device_scalarIT1_EES3_bbbT3_S4_llPKT2_PKS4_PKT4_PKT5_llPT6_ll16rocsparse_order_21rocsparse_index_base_,comdat
	.protected	_ZN9rocsparse31csrmmnn_row_split_shared_kernelILj256ELj8EillaaiEEvNS_24const_host_device_scalarIT1_EES3_bbbT3_S4_llPKT2_PKS4_PKT4_PKT5_llPT6_ll16rocsparse_order_21rocsparse_index_base_ ; -- Begin function _ZN9rocsparse31csrmmnn_row_split_shared_kernelILj256ELj8EillaaiEEvNS_24const_host_device_scalarIT1_EES3_bbbT3_S4_llPKT2_PKS4_PKT4_PKT5_llPT6_ll16rocsparse_order_21rocsparse_index_base_
	.globl	_ZN9rocsparse31csrmmnn_row_split_shared_kernelILj256ELj8EillaaiEEvNS_24const_host_device_scalarIT1_EES3_bbbT3_S4_llPKT2_PKS4_PKT4_PKT5_llPT6_ll16rocsparse_order_21rocsparse_index_base_
	.p2align	8
	.type	_ZN9rocsparse31csrmmnn_row_split_shared_kernelILj256ELj8EillaaiEEvNS_24const_host_device_scalarIT1_EES3_bbbT3_S4_llPKT2_PKS4_PKT4_PKT5_llPT6_ll16rocsparse_order_21rocsparse_index_base_,@function
_ZN9rocsparse31csrmmnn_row_split_shared_kernelILj256ELj8EillaaiEEvNS_24const_host_device_scalarIT1_EES3_bbbT3_S4_llPKT2_PKS4_PKT4_PKT5_llPT6_ll16rocsparse_order_21rocsparse_index_base_: ; @_ZN9rocsparse31csrmmnn_row_split_shared_kernelILj256ELj8EillaaiEEvNS_24const_host_device_scalarIT1_EES3_bbbT3_S4_llPKT2_PKS4_PKT4_PKT5_llPT6_ll16rocsparse_order_21rocsparse_index_base_
; %bb.0:
	s_load_dword s9, s[4:5], 0x10
	s_load_dwordx4 s[0:3], s[4:5], 0x0
	s_mov_b64 s[12:13], -1
                                        ; implicit-def: $sgpr33
	s_waitcnt lgkmcnt(0)
	s_bitcmp1_b32 s9, 0
	s_cselect_b64 s[10:11], -1, 0
	s_xor_b64 s[10:11], s[10:11], -1
	s_and_b64 vcc, exec, s[10:11]
	s_cbranch_vccnz .LBB17_4
; %bb.1:
	s_andn2_b64 vcc, exec, s[12:13]
	s_cbranch_vccz .LBB17_5
.LBB17_2:
	s_and_b64 vcc, exec, s[10:11]
	s_cbranch_vccz .LBB17_6
.LBB17_3:
	s_load_dword s9, s[2:3], 0x0
	s_cbranch_execz .LBB17_7
	s_branch .LBB17_8
.LBB17_4:
	s_load_dword s33, s[0:1], 0x0
	s_cbranch_execnz .LBB17_2
.LBB17_5:
	s_waitcnt lgkmcnt(0)
	s_mov_b32 s33, s0
	s_and_b64 vcc, exec, s[10:11]
	s_cbranch_vccnz .LBB17_3
.LBB17_6:
                                        ; implicit-def: $sgpr9
.LBB17_7:
	s_waitcnt lgkmcnt(0)
	s_mov_b32 s9, s2
.LBB17_8:
	s_waitcnt lgkmcnt(0)
	s_cmp_eq_u32 s33, 0
	s_cselect_b64 s[0:1], -1, 0
	s_cmp_eq_u32 s9, 1
	s_cselect_b64 s[2:3], -1, 0
	s_and_b64 s[0:1], s[0:1], s[2:3]
	s_and_b64 vcc, exec, s[0:1]
	s_cbranch_vccnz .LBB17_25
; %bb.9:
	s_load_dwordx16 s[12:27], s[4:5], 0x18
	v_lshl_or_b32 v1, s6, 8, v0
	v_lshrrev_b32_e32 v6, 3, v1
	v_mov_b32_e32 v7, 0
	s_waitcnt lgkmcnt(0)
	v_cmp_gt_i64_e32 vcc, s[12:13], v[6:7]
	s_and_saveexec_b64 s[0:1], vcc
	s_cbranch_execz .LBB17_25
; %bb.10:
	s_mul_i32 s0, s8, s17
	s_mul_hi_u32 s1, s8, s16
	s_add_i32 s1, s1, s0
	s_mul_i32 s0, s8, s16
	s_lshl_b64 s[0:1], s[0:1], 3
	s_add_u32 s0, s20, s0
	s_addc_u32 s1, s21, s1
	v_lshlrev_b32_e32 v1, 3, v6
	global_load_dwordx4 v[2:5], v1, s[0:1]
	s_load_dwordx8 s[36:43], s[4:5], 0x58
	s_load_dwordx4 s[28:31], s[4:5], 0x78
	v_and_b32_e32 v10, 7, v0
	v_lshl_or_b32 v8, s7, 3, v10
	s_mov_b32 s10, 0
	v_mov_b32_e32 v9, 0
	s_waitcnt vmcnt(0)
	v_cmp_lt_i64_e32 vcc, v[2:3], v[4:5]
	s_and_saveexec_b64 s[2:3], vcc
	s_cbranch_execz .LBB17_18
; %bb.11:
	v_mov_b32_e32 v12, s26
	v_mov_b32_e32 v13, s27
	s_mul_i32 s4, s8, s19
	s_mul_hi_u32 s0, s8, s18
	v_lshrrev_b32_e32 v7, 3, v0
	v_mov_b32_e32 v14, 0x800
	s_add_i32 s5, s0, s4
	s_waitcnt lgkmcnt(0)
	v_mad_u64_u32 v[12:13], s[0:1], v8, s36, v[12:13]
	v_lshl_or_b32 v17, v7, 5, v14
	v_mov_b32_e32 v14, v13
	s_mov_b32 s11, s31
	v_mad_u64_u32 v[14:15], s[0:1], v8, s37, v[14:15]
	v_subrev_co_u32_e32 v4, vcc, s11, v4
	v_lshlrev_b32_e32 v11, 6, v7
	v_mov_b32_e32 v13, v14
	v_mov_b32_e32 v7, s38
	v_subbrev_co_u32_e32 v5, vcc, 0, v5, vcc
	v_mad_u64_u32 v[12:13], s[0:1], s8, v7, v[12:13]
	v_subrev_co_u32_e32 v0, vcc, s11, v2
	s_mul_i32 s0, s8, s39
	v_mov_b32_e32 v7, s18
	v_subbrev_co_u32_e32 v1, vcc, 0, v3, vcc
	v_add_u32_e32 v13, s0, v13
	v_mad_u64_u32 v[2:3], s[0:1], s8, v7, v[2:3]
	v_add_u32_e32 v3, s4, v3
	v_add_co_u32_e64 v2, s[0:1], v2, v10
	v_addc_co_u32_e64 v3, s[0:1], 0, v3, s[0:1]
	v_subrev_co_u32_e64 v2, s[0:1], s11, v2
	v_subbrev_co_u32_e64 v3, s[0:1], 0, v3, s[0:1]
	v_lshlrev_b64 v[2:3], 3, v[2:3]
	v_mov_b32_e32 v7, s23
	v_add_co_u32_e64 v2, s[0:1], s22, v2
	s_mul_i32 s6, s8, s18
	v_addc_co_u32_e64 v3, s[0:1], v7, v3, s[0:1]
	s_add_u32 s0, s24, s6
	s_addc_u32 s1, s25, s5
	v_mov_b32_e32 v7, s1
	v_add_co_u32_e64 v19, s[0:1], s0, v10
	v_lshl_or_b32 v16, v10, 3, v11
	v_lshl_or_b32 v18, v10, 2, v17
	v_cmp_gt_i64_e32 vcc, s[14:15], v[8:9]
	v_addc_co_u32_e64 v20, s[0:1], 0, v7, s[0:1]
	s_mov_b64 s[4:5], 0
	v_mov_b32_e32 v7, v9
	s_branch .LBB17_13
.LBB17_12:                              ;   in Loop: Header=BB17_13 Depth=1
	s_or_b64 exec, exec, s[6:7]
	v_add_co_u32_e64 v0, s[0:1], 8, v0
	v_addc_co_u32_e64 v1, s[0:1], 0, v1, s[0:1]
	v_cmp_ge_i64_e64 s[0:1], v[0:1], v[4:5]
	s_or_b64 s[4:5], s[0:1], s[4:5]
	v_add_co_u32_e64 v2, s[0:1], 64, v2
	v_addc_co_u32_e64 v3, s[0:1], 0, v3, s[0:1]
	s_andn2_b64 exec, exec, s[4:5]
	s_cbranch_execz .LBB17_17
.LBB17_13:                              ; =>This Inner Loop Header: Depth=1
	v_add_co_u32_e64 v14, s[0:1], v10, v0
	v_addc_co_u32_e64 v15, s[0:1], 0, v1, s[0:1]
	v_cmp_lt_i64_e64 s[0:1], v[14:15], v[4:5]
	v_pk_mov_b32 v[14:15], 0, 0
	v_mov_b32_e32 v21, 0
	s_barrier
	s_and_saveexec_b64 s[6:7], s[0:1]
	s_cbranch_execz .LBB17_15
; %bb.14:                               ;   in Loop: Header=BB17_13 Depth=1
	global_load_dwordx2 v[14:15], v[2:3], off
	v_add_co_u32_e64 v22, s[0:1], v19, v0
	v_addc_co_u32_e64 v23, s[0:1], v20, v1, s[0:1]
	global_load_sbyte v21, v[22:23], off
	v_mov_b32_e32 v22, s10
	s_waitcnt vmcnt(1)
	v_subrev_co_u32_e64 v14, s[0:1], s11, v14
	v_subb_co_u32_e64 v15, s[0:1], v15, v22, s[0:1]
.LBB17_15:                              ;   in Loop: Header=BB17_13 Depth=1
	s_or_b64 exec, exec, s[6:7]
	ds_write_b64 v16, v[14:15]
	s_waitcnt vmcnt(0)
	ds_write_b32 v18, v21
	s_waitcnt lgkmcnt(0)
	s_barrier
	s_and_saveexec_b64 s[6:7], vcc
	s_cbranch_execz .LBB17_12
; %bb.16:                               ;   in Loop: Header=BB17_13 Depth=1
	ds_read_b128 v[22:25], v11
	ds_read_b128 v[26:29], v11 offset:16
	ds_read_b128 v[30:33], v11 offset:32
	;; [unrolled: 1-line block ×3, first 2 shown]
	s_waitcnt lgkmcnt(3)
	v_add_co_u32_e64 v14, s[0:1], v12, v22
	v_addc_co_u32_e64 v15, s[0:1], v13, v23, s[0:1]
	v_add_co_u32_e64 v22, s[0:1], v12, v24
	v_addc_co_u32_e64 v23, s[0:1], v13, v25, s[0:1]
	s_waitcnt lgkmcnt(2)
	v_add_co_u32_e64 v24, s[0:1], v12, v26
	v_addc_co_u32_e64 v25, s[0:1], v13, v27, s[0:1]
	v_add_co_u32_e64 v26, s[0:1], v12, v28
	v_addc_co_u32_e64 v27, s[0:1], v13, v29, s[0:1]
	s_waitcnt lgkmcnt(1)
	v_add_co_u32_e64 v28, s[0:1], v12, v30
	v_addc_co_u32_e64 v29, s[0:1], v13, v31, s[0:1]
	v_add_co_u32_e64 v30, s[0:1], v12, v32
	v_addc_co_u32_e64 v31, s[0:1], v13, v33, s[0:1]
	s_waitcnt lgkmcnt(0)
	v_add_co_u32_e64 v32, s[0:1], v12, v34
	v_addc_co_u32_e64 v33, s[0:1], v13, v35, s[0:1]
	global_load_sbyte v21, v[14:15], off
	global_load_sbyte v34, v[22:23], off
	;; [unrolled: 1-line block ×7, first 2 shown]
	v_add_co_u32_e64 v14, s[0:1], v12, v36
	v_addc_co_u32_e64 v15, s[0:1], v13, v37, s[0:1]
	global_load_sbyte v14, v[14:15], off
	ds_read_b128 v[22:25], v17
	ds_read_b128 v[26:29], v17 offset:16
	s_waitcnt vmcnt(7) lgkmcnt(1)
	v_mul_lo_u32 v15, v22, v21
	s_waitcnt vmcnt(6)
	v_mul_lo_u32 v21, v23, v34
	s_waitcnt vmcnt(5)
	;; [unrolled: 2-line block ×3, first 2 shown]
	v_mul_lo_u32 v23, v25, v38
	v_add3_u32 v7, v15, v7, v21
	s_waitcnt vmcnt(3) lgkmcnt(0)
	v_mul_lo_u32 v24, v26, v39
	s_waitcnt vmcnt(2)
	v_mul_lo_u32 v25, v27, v40
	v_add3_u32 v7, v7, v22, v23
	s_waitcnt vmcnt(1)
	v_mul_lo_u32 v26, v28, v41
	v_add3_u32 v7, v7, v24, v25
	s_waitcnt vmcnt(0)
	v_mul_lo_u32 v14, v29, v14
	v_add3_u32 v7, v7, v26, v14
	s_branch .LBB17_12
.LBB17_17:
	s_or_b64 exec, exec, s[4:5]
.LBB17_18:
	s_or_b64 exec, exec, s[2:3]
	v_cmp_gt_i64_e32 vcc, s[14:15], v[8:9]
	s_and_b64 exec, exec, vcc
	s_cbranch_execz .LBB17_25
; %bb.19:
	s_waitcnt lgkmcnt(0)
	s_cmp_lg_u32 s30, 1
	s_cselect_b64 s[2:3], -1, 0
	s_cmp_lg_u32 s9, 0
	v_mul_lo_u32 v0, v7, s33
	s_mul_i32 s6, s8, s29
	s_mul_hi_u32 s7, s8, s28
	s_mul_i32 s0, s8, s28
	s_cbranch_scc0 .LBB17_26
; %bb.20:
	s_add_i32 s1, s7, s6
	s_mov_b64 s[4:5], -1
	s_and_b64 vcc, exec, s[2:3]
	s_cbranch_vccz .LBB17_22
; %bb.21:
	v_mad_u64_u32 v[2:3], s[4:5], v6, s42, 0
	v_mov_b32_e32 v4, v3
	v_mad_u64_u32 v[4:5], s[4:5], v6, s43, v[4:5]
	v_mov_b32_e32 v3, v4
	v_lshlrev_b64 v[2:3], 2, v[2:3]
	v_mov_b32_e32 v1, s41
	v_add_co_u32_e32 v4, vcc, s40, v2
	v_addc_co_u32_e32 v1, vcc, v1, v3, vcc
	v_lshlrev_b64 v[2:3], 2, v[8:9]
	v_add_co_u32_e32 v2, vcc, v4, v2
	v_addc_co_u32_e32 v1, vcc, v1, v3, vcc
	s_lshl_b64 s[4:5], s[0:1], 2
	v_mov_b32_e32 v3, s5
	v_add_co_u32_e32 v2, vcc, s4, v2
	v_addc_co_u32_e32 v3, vcc, v1, v3, vcc
	global_load_dword v1, v[2:3], off
	s_waitcnt vmcnt(0)
	v_mad_u64_u32 v[4:5], s[4:5], v1, s9, v[0:1]
	global_store_dword v[2:3], v4, off
	s_mov_b64 s[4:5], 0
.LBB17_22:
	s_andn2_b64 vcc, exec, s[4:5]
	s_cbranch_vccnz .LBB17_24
; %bb.23:
	v_mad_u64_u32 v[2:3], s[4:5], v8, s42, 0
	v_mov_b32_e32 v4, v3
	v_mad_u64_u32 v[4:5], s[4:5], v8, s43, v[4:5]
	v_mov_b32_e32 v3, v4
	v_lshlrev_b64 v[2:3], 2, v[2:3]
	v_mov_b32_e32 v1, s41
	v_add_co_u32_e32 v2, vcc, s40, v2
	v_addc_co_u32_e32 v1, vcc, v1, v3, vcc
	v_lshlrev_b32_e32 v3, 2, v6
	v_add_co_u32_e32 v2, vcc, v2, v3
	v_addc_co_u32_e32 v1, vcc, 0, v1, vcc
	s_lshl_b64 s[4:5], s[0:1], 2
	v_mov_b32_e32 v3, s5
	v_add_co_u32_e32 v2, vcc, s4, v2
	v_addc_co_u32_e32 v3, vcc, v1, v3, vcc
	global_load_dword v1, v[2:3], off
	s_waitcnt vmcnt(0)
	v_mad_u64_u32 v[4:5], s[4:5], v1, s9, v[0:1]
	global_store_dword v[2:3], v4, off
.LBB17_24:
	s_cbranch_execz .LBB17_27
.LBB17_25:
	s_endpgm
.LBB17_26:
.LBB17_27:
	s_add_i32 s1, s7, s6
	s_mov_b64 s[4:5], -1
	s_and_b64 vcc, exec, s[2:3]
	s_cbranch_vccz .LBB17_29
; %bb.28:
	v_mad_u64_u32 v[2:3], s[2:3], v6, s42, 0
	v_mov_b32_e32 v4, v3
	v_mad_u64_u32 v[4:5], s[2:3], v6, s43, v[4:5]
	v_mov_b32_e32 v3, v4
	v_lshlrev_b64 v[2:3], 2, v[2:3]
	v_mov_b32_e32 v1, s41
	v_add_co_u32_e32 v4, vcc, s40, v2
	v_addc_co_u32_e32 v1, vcc, v1, v3, vcc
	v_lshlrev_b64 v[2:3], 2, v[8:9]
	v_add_co_u32_e32 v2, vcc, v4, v2
	v_addc_co_u32_e32 v1, vcc, v1, v3, vcc
	s_lshl_b64 s[2:3], s[0:1], 2
	v_mov_b32_e32 v3, s3
	v_add_co_u32_e32 v2, vcc, s2, v2
	v_addc_co_u32_e32 v3, vcc, v1, v3, vcc
	global_store_dword v[2:3], v0, off
	s_mov_b64 s[4:5], 0
.LBB17_29:
	s_andn2_b64 vcc, exec, s[4:5]
	s_cbranch_vccnz .LBB17_25
; %bb.30:
	v_mad_u64_u32 v[2:3], s[2:3], v8, s42, 0
	v_mov_b32_e32 v4, v3
	v_mad_u64_u32 v[4:5], s[2:3], v8, s43, v[4:5]
	v_mov_b32_e32 v3, v4
	v_lshlrev_b64 v[2:3], 2, v[2:3]
	v_mov_b32_e32 v1, s41
	v_add_co_u32_e32 v2, vcc, s40, v2
	v_addc_co_u32_e32 v1, vcc, v1, v3, vcc
	v_lshlrev_b32_e32 v3, 2, v6
	v_add_co_u32_e32 v2, vcc, v2, v3
	v_addc_co_u32_e32 v1, vcc, 0, v1, vcc
	s_lshl_b64 s[0:1], s[0:1], 2
	v_mov_b32_e32 v3, s1
	v_add_co_u32_e32 v2, vcc, s0, v2
	v_addc_co_u32_e32 v3, vcc, v1, v3, vcc
	global_store_dword v[2:3], v0, off
	s_endpgm
	.section	.rodata,"a",@progbits
	.p2align	6, 0x0
	.amdhsa_kernel _ZN9rocsparse31csrmmnn_row_split_shared_kernelILj256ELj8EillaaiEEvNS_24const_host_device_scalarIT1_EES3_bbbT3_S4_llPKT2_PKS4_PKT4_PKT5_llPT6_ll16rocsparse_order_21rocsparse_index_base_
		.amdhsa_group_segment_fixed_size 3072
		.amdhsa_private_segment_fixed_size 0
		.amdhsa_kernarg_size 136
		.amdhsa_user_sgpr_count 6
		.amdhsa_user_sgpr_private_segment_buffer 1
		.amdhsa_user_sgpr_dispatch_ptr 0
		.amdhsa_user_sgpr_queue_ptr 0
		.amdhsa_user_sgpr_kernarg_segment_ptr 1
		.amdhsa_user_sgpr_dispatch_id 0
		.amdhsa_user_sgpr_flat_scratch_init 0
		.amdhsa_user_sgpr_kernarg_preload_length 0
		.amdhsa_user_sgpr_kernarg_preload_offset 0
		.amdhsa_user_sgpr_private_segment_size 0
		.amdhsa_uses_dynamic_stack 0
		.amdhsa_system_sgpr_private_segment_wavefront_offset 0
		.amdhsa_system_sgpr_workgroup_id_x 1
		.amdhsa_system_sgpr_workgroup_id_y 1
		.amdhsa_system_sgpr_workgroup_id_z 1
		.amdhsa_system_sgpr_workgroup_info 0
		.amdhsa_system_vgpr_workitem_id 0
		.amdhsa_next_free_vgpr 42
		.amdhsa_next_free_sgpr 44
		.amdhsa_accum_offset 44
		.amdhsa_reserve_vcc 1
		.amdhsa_reserve_flat_scratch 0
		.amdhsa_float_round_mode_32 0
		.amdhsa_float_round_mode_16_64 0
		.amdhsa_float_denorm_mode_32 3
		.amdhsa_float_denorm_mode_16_64 3
		.amdhsa_dx10_clamp 1
		.amdhsa_ieee_mode 1
		.amdhsa_fp16_overflow 0
		.amdhsa_tg_split 0
		.amdhsa_exception_fp_ieee_invalid_op 0
		.amdhsa_exception_fp_denorm_src 0
		.amdhsa_exception_fp_ieee_div_zero 0
		.amdhsa_exception_fp_ieee_overflow 0
		.amdhsa_exception_fp_ieee_underflow 0
		.amdhsa_exception_fp_ieee_inexact 0
		.amdhsa_exception_int_div_zero 0
	.end_amdhsa_kernel
	.section	.text._ZN9rocsparse31csrmmnn_row_split_shared_kernelILj256ELj8EillaaiEEvNS_24const_host_device_scalarIT1_EES3_bbbT3_S4_llPKT2_PKS4_PKT4_PKT5_llPT6_ll16rocsparse_order_21rocsparse_index_base_,"axG",@progbits,_ZN9rocsparse31csrmmnn_row_split_shared_kernelILj256ELj8EillaaiEEvNS_24const_host_device_scalarIT1_EES3_bbbT3_S4_llPKT2_PKS4_PKT4_PKT5_llPT6_ll16rocsparse_order_21rocsparse_index_base_,comdat
.Lfunc_end17:
	.size	_ZN9rocsparse31csrmmnn_row_split_shared_kernelILj256ELj8EillaaiEEvNS_24const_host_device_scalarIT1_EES3_bbbT3_S4_llPKT2_PKS4_PKT4_PKT5_llPT6_ll16rocsparse_order_21rocsparse_index_base_, .Lfunc_end17-_ZN9rocsparse31csrmmnn_row_split_shared_kernelILj256ELj8EillaaiEEvNS_24const_host_device_scalarIT1_EES3_bbbT3_S4_llPKT2_PKS4_PKT4_PKT5_llPT6_ll16rocsparse_order_21rocsparse_index_base_
                                        ; -- End function
	.section	.AMDGPU.csdata,"",@progbits
; Kernel info:
; codeLenInByte = 1612
; NumSgprs: 48
; NumVgprs: 42
; NumAgprs: 0
; TotalNumVgprs: 42
; ScratchSize: 0
; MemoryBound: 0
; FloatMode: 240
; IeeeMode: 1
; LDSByteSize: 3072 bytes/workgroup (compile time only)
; SGPRBlocks: 5
; VGPRBlocks: 5
; NumSGPRsForWavesPerEU: 48
; NumVGPRsForWavesPerEU: 42
; AccumOffset: 44
; Occupancy: 8
; WaveLimiterHint : 0
; COMPUTE_PGM_RSRC2:SCRATCH_EN: 0
; COMPUTE_PGM_RSRC2:USER_SGPR: 6
; COMPUTE_PGM_RSRC2:TRAP_HANDLER: 0
; COMPUTE_PGM_RSRC2:TGID_X_EN: 1
; COMPUTE_PGM_RSRC2:TGID_Y_EN: 1
; COMPUTE_PGM_RSRC2:TGID_Z_EN: 1
; COMPUTE_PGM_RSRC2:TIDIG_COMP_CNT: 0
; COMPUTE_PGM_RSRC3_GFX90A:ACCUM_OFFSET: 10
; COMPUTE_PGM_RSRC3_GFX90A:TG_SPLIT: 0
	.section	.text._ZN9rocsparse31csrmmnn_row_split_shared_kernelILj256ELj8EfiiaafEEvNS_24const_host_device_scalarIT1_EES3_bbbT3_S4_llPKT2_PKS4_PKT4_PKT5_llPT6_ll16rocsparse_order_21rocsparse_index_base_,"axG",@progbits,_ZN9rocsparse31csrmmnn_row_split_shared_kernelILj256ELj8EfiiaafEEvNS_24const_host_device_scalarIT1_EES3_bbbT3_S4_llPKT2_PKS4_PKT4_PKT5_llPT6_ll16rocsparse_order_21rocsparse_index_base_,comdat
	.protected	_ZN9rocsparse31csrmmnn_row_split_shared_kernelILj256ELj8EfiiaafEEvNS_24const_host_device_scalarIT1_EES3_bbbT3_S4_llPKT2_PKS4_PKT4_PKT5_llPT6_ll16rocsparse_order_21rocsparse_index_base_ ; -- Begin function _ZN9rocsparse31csrmmnn_row_split_shared_kernelILj256ELj8EfiiaafEEvNS_24const_host_device_scalarIT1_EES3_bbbT3_S4_llPKT2_PKS4_PKT4_PKT5_llPT6_ll16rocsparse_order_21rocsparse_index_base_
	.globl	_ZN9rocsparse31csrmmnn_row_split_shared_kernelILj256ELj8EfiiaafEEvNS_24const_host_device_scalarIT1_EES3_bbbT3_S4_llPKT2_PKS4_PKT4_PKT5_llPT6_ll16rocsparse_order_21rocsparse_index_base_
	.p2align	8
	.type	_ZN9rocsparse31csrmmnn_row_split_shared_kernelILj256ELj8EfiiaafEEvNS_24const_host_device_scalarIT1_EES3_bbbT3_S4_llPKT2_PKS4_PKT4_PKT5_llPT6_ll16rocsparse_order_21rocsparse_index_base_,@function
_ZN9rocsparse31csrmmnn_row_split_shared_kernelILj256ELj8EfiiaafEEvNS_24const_host_device_scalarIT1_EES3_bbbT3_S4_llPKT2_PKS4_PKT4_PKT5_llPT6_ll16rocsparse_order_21rocsparse_index_base_: ; @_ZN9rocsparse31csrmmnn_row_split_shared_kernelILj256ELj8EfiiaafEEvNS_24const_host_device_scalarIT1_EES3_bbbT3_S4_llPKT2_PKS4_PKT4_PKT5_llPT6_ll16rocsparse_order_21rocsparse_index_base_
; %bb.0:
	s_load_dwordx8 s[36:43], s[4:5], 0x0
	s_waitcnt lgkmcnt(0)
	s_bitcmp1_b32 s40, 0
	s_cselect_b64 s[2:3], -1, 0
	s_xor_b64 s[0:1], s[2:3], -1
	s_and_b64 vcc, exec, s[2:3]
	s_cbranch_vccnz .LBB18_2
; %bb.1:
	s_load_dword s36, s[36:37], 0x0
.LBB18_2:
	s_andn2_b64 vcc, exec, s[0:1]
	s_cbranch_vccnz .LBB18_4
; %bb.3:
	s_load_dword s38, s[38:39], 0x0
.LBB18_4:
	s_waitcnt lgkmcnt(0)
	v_cmp_eq_f32_e64 s[0:1], s36, 0
	v_cmp_eq_f32_e64 s[2:3], s38, 1.0
	s_and_b64 s[0:1], s[0:1], s[2:3]
	s_and_b64 vcc, exec, s[0:1]
	s_cbranch_vccnz .LBB18_21
; %bb.5:
	v_lshl_or_b32 v1, s6, 8, v0
	v_lshrrev_b32_e32 v7, 3, v1
	v_cmp_gt_i32_e32 vcc, s41, v7
	s_and_saveexec_b64 s[0:1], vcc
	s_cbranch_execz .LBB18_21
; %bb.6:
	s_load_dwordx16 s[12:27], s[4:5], 0x20
	s_ashr_i32 s9, s8, 31
	v_lshlrev_b32_e32 v6, 2, v7
	s_load_dwordx2 s[10:11], s[4:5], 0x78
	v_and_b32_e32 v8, 7, v0
	s_waitcnt lgkmcnt(0)
	s_mul_i32 s1, s8, s13
	s_mul_hi_u32 s2, s8, s12
	s_mul_i32 s3, s9, s12
	s_add_i32 s1, s2, s1
	s_mul_i32 s0, s8, s12
	s_add_i32 s1, s1, s3
	s_lshl_b64 s[0:1], s[0:1], 2
	s_add_u32 s0, s16, s0
	s_addc_u32 s1, s17, s1
	global_load_dwordx2 v[4:5], v6, s[0:1]
	v_lshl_or_b32 v2, s7, 3, v8
	v_ashrrev_i32_e32 v3, 31, v2
	v_mov_b32_e32 v9, 0
	s_waitcnt vmcnt(0)
	v_cmp_lt_i32_e32 vcc, v4, v5
	s_and_saveexec_b64 s[2:3], vcc
	s_cbranch_execz .LBB18_14
; %bb.7:
	v_lshlrev_b32_e32 v0, 2, v0
	v_and_b32_e32 v10, 0x3e0, v0
	s_mul_i32 s0, s8, s15
	s_mul_hi_u32 s1, s8, s14
	v_mov_b32_e32 v14, s22
	v_mov_b32_e32 v15, s23
	v_lshlrev_b32_e32 v1, 2, v8
	v_or_b32_e32 v12, 0x400, v10
	s_add_i32 s0, s1, s0
	s_mul_i32 s1, s9, s14
	v_or_b32_e32 v11, v10, v1
	v_or_b32_e32 v13, v12, v1
	s_add_i32 s15, s0, s1
	v_mul_lo_u32 v9, v2, s25
	v_mul_lo_u32 v16, v3, s24
	v_mad_u64_u32 v[0:1], s[0:1], v2, s24, v[14:15]
	v_add3_u32 v1, v16, v1, v9
	v_mov_b32_e32 v9, s26
	v_mad_u64_u32 v[0:1], s[0:1], s8, v9, v[0:1]
	s_mul_i32 s0, s9, s26
	s_mul_i32 s1, s8, s27
	s_add_i32 s1, s1, s0
	v_subrev_u32_e32 v5, s11, v5
	v_subrev_u32_e32 v4, s11, v4
	s_mul_i32 s14, s8, s14
	v_cmp_gt_i32_e32 vcc, s42, v2
	v_add_u32_e32 v1, s1, v1
	s_mov_b64 s[6:7], 0
	v_mov_b32_e32 v9, 0
	s_branch .LBB18_9
.LBB18_8:                               ;   in Loop: Header=BB18_9 Depth=1
	s_or_b64 exec, exec, s[12:13]
	v_add_u32_e32 v4, 8, v4
	v_cmp_ge_i32_e64 s[0:1], v4, v5
	s_or_b64 s[6:7], s[0:1], s[6:7]
	s_andn2_b64 exec, exec, s[6:7]
	s_cbranch_execz .LBB18_13
.LBB18_9:                               ; =>This Inner Loop Header: Depth=1
	v_add_u32_e32 v14, v8, v4
	v_cmp_lt_i32_e64 s[0:1], v14, v5
	v_mov_b32_e32 v16, 0
	v_mov_b32_e32 v15, 0
	s_barrier
	s_and_saveexec_b64 s[12:13], s[0:1]
	s_cbranch_execz .LBB18_11
; %bb.10:                               ;   in Loop: Header=BB18_9 Depth=1
	v_ashrrev_i32_e32 v15, 31, v14
	v_mov_b32_e32 v16, s15
	v_add_co_u32_e64 v14, s[0:1], s14, v14
	v_addc_co_u32_e64 v15, s[0:1], v16, v15, s[0:1]
	v_lshlrev_b64 v[16:17], 2, v[14:15]
	v_mov_b32_e32 v19, s21
	v_add_co_u32_e64 v14, s[0:1], s20, v14
	v_addc_co_u32_e64 v15, s[0:1], v19, v15, s[0:1]
	global_load_sbyte v19, v[14:15], off
	v_mov_b32_e32 v18, s19
	v_add_co_u32_e64 v14, s[0:1], s18, v16
	v_addc_co_u32_e64 v15, s[0:1], v18, v17, s[0:1]
	global_load_dword v14, v[14:15], off
	s_waitcnt vmcnt(1)
	v_cvt_f32_i32_e32 v15, v19
	s_waitcnt vmcnt(0)
	v_subrev_u32_e32 v16, s11, v14
.LBB18_11:                              ;   in Loop: Header=BB18_9 Depth=1
	s_or_b64 exec, exec, s[12:13]
	ds_write_b32 v11, v16
	ds_write_b32 v13, v15
	s_waitcnt lgkmcnt(0)
	s_barrier
	s_and_saveexec_b64 s[12:13], vcc
	s_cbranch_execz .LBB18_8
; %bb.12:                               ;   in Loop: Header=BB18_9 Depth=1
	ds_read_b128 v[14:17], v10
	ds_read_b128 v[18:21], v10 offset:16
	s_waitcnt lgkmcnt(1)
	v_ashrrev_i32_e32 v23, 31, v14
	v_add_co_u32_e64 v22, s[0:1], v0, v14
	v_addc_co_u32_e64 v23, s[0:1], v1, v23, s[0:1]
	v_ashrrev_i32_e32 v24, 31, v15
	v_add_co_u32_e64 v14, s[0:1], v0, v15
	v_addc_co_u32_e64 v15, s[0:1], v1, v24, s[0:1]
	;; [unrolled: 3-line block ×4, first 2 shown]
	s_waitcnt lgkmcnt(0)
	v_ashrrev_i32_e32 v27, 31, v18
	v_add_co_u32_e64 v26, s[0:1], v0, v18
	v_addc_co_u32_e64 v27, s[0:1], v1, v27, s[0:1]
	v_ashrrev_i32_e32 v28, 31, v19
	v_add_co_u32_e64 v18, s[0:1], v0, v19
	v_addc_co_u32_e64 v19, s[0:1], v1, v28, s[0:1]
	;; [unrolled: 3-line block ×3, first 2 shown]
	global_load_sbyte v30, v[22:23], off
	global_load_sbyte v31, v[14:15], off
	global_load_sbyte v32, v[24:25], off
	global_load_sbyte v33, v[16:17], off
	global_load_sbyte v34, v[26:27], off
	global_load_sbyte v35, v[18:19], off
	global_load_sbyte v36, v[28:29], off
	v_ashrrev_i32_e32 v15, 31, v21
	v_add_co_u32_e64 v14, s[0:1], v0, v21
	v_addc_co_u32_e64 v15, s[0:1], v1, v15, s[0:1]
	global_load_sbyte v22, v[14:15], off
	ds_read_b128 v[14:17], v12
	ds_read_b128 v[18:21], v12 offset:16
	s_waitcnt vmcnt(7)
	v_cvt_f32_i32_e32 v23, v30
	s_waitcnt vmcnt(6)
	v_cvt_f32_i32_e32 v24, v31
	;; [unrolled: 2-line block ×5, first 2 shown]
	s_waitcnt lgkmcnt(1)
	v_fmac_f32_e32 v9, v14, v23
	s_waitcnt vmcnt(2)
	v_cvt_f32_i32_e32 v28, v35
	v_fmac_f32_e32 v9, v15, v24
	s_waitcnt vmcnt(1)
	v_cvt_f32_i32_e32 v29, v36
	v_fmac_f32_e32 v9, v16, v25
	v_fmac_f32_e32 v9, v17, v26
	s_waitcnt lgkmcnt(0)
	v_fmac_f32_e32 v9, v18, v27
	s_waitcnt vmcnt(0)
	v_cvt_f32_i32_e32 v14, v22
	v_fmac_f32_e32 v9, v19, v28
	v_fmac_f32_e32 v9, v20, v29
	;; [unrolled: 1-line block ×3, first 2 shown]
	s_branch .LBB18_8
.LBB18_13:
	s_or_b64 exec, exec, s[6:7]
.LBB18_14:
	s_or_b64 exec, exec, s[2:3]
	v_cmp_gt_i32_e32 vcc, s42, v2
	s_and_b64 exec, exec, vcc
	s_cbranch_execz .LBB18_21
; %bb.15:
	s_load_dwordx4 s[0:3], s[4:5], 0x60
	s_load_dwordx2 s[14:15], s[4:5], 0x70
	v_cmp_neq_f32_e64 s[4:5], s38, 0
	s_cmp_lg_u32 s10, 1
	s_cselect_b64 s[6:7], -1, 0
	s_and_b64 vcc, exec, s[4:5]
	v_mul_f32_e32 v0, s36, v9
	s_waitcnt lgkmcnt(0)
	s_mul_i32 s10, s8, s15
	s_mul_hi_u32 s11, s8, s14
	s_mul_i32 s12, s9, s14
	s_mul_i32 s4, s8, s14
	s_cbranch_vccz .LBB18_22
; %bb.16:
	s_add_i32 s5, s11, s10
	s_add_i32 s5, s5, s12
	s_mov_b64 s[8:9], -1
	s_and_b64 vcc, exec, s[6:7]
	s_cbranch_vccz .LBB18_18
; %bb.17:
	v_mad_u64_u32 v[4:5], s[8:9], v7, s2, 0
	v_mov_b32_e32 v8, v5
	v_mad_u64_u32 v[8:9], s[8:9], v7, s3, v[8:9]
	v_mov_b32_e32 v5, v8
	v_lshlrev_b64 v[4:5], 2, v[4:5]
	v_mov_b32_e32 v1, s1
	v_add_co_u32_e32 v8, vcc, s0, v4
	v_addc_co_u32_e32 v1, vcc, v1, v5, vcc
	v_lshlrev_b64 v[4:5], 2, v[2:3]
	v_add_co_u32_e32 v4, vcc, v8, v4
	v_addc_co_u32_e32 v1, vcc, v1, v5, vcc
	s_lshl_b64 s[8:9], s[4:5], 2
	v_mov_b32_e32 v5, s9
	v_add_co_u32_e32 v4, vcc, s8, v4
	v_addc_co_u32_e32 v5, vcc, v1, v5, vcc
	global_load_dword v1, v[4:5], off
	s_mov_b64 s[8:9], 0
	s_waitcnt vmcnt(0)
	v_fma_f32 v1, s38, v1, v0
	global_store_dword v[4:5], v1, off
.LBB18_18:
	s_andn2_b64 vcc, exec, s[8:9]
	s_cbranch_vccnz .LBB18_20
; %bb.19:
	v_mul_lo_u32 v1, v3, s2
	v_mul_lo_u32 v8, v2, s3
	v_mad_u64_u32 v[4:5], s[8:9], v2, s2, 0
	v_add3_u32 v5, v5, v8, v1
	v_lshlrev_b64 v[4:5], 2, v[4:5]
	v_mov_b32_e32 v1, s1
	v_add_co_u32_e32 v4, vcc, s0, v4
	v_addc_co_u32_e32 v1, vcc, v1, v5, vcc
	v_add_co_u32_e32 v4, vcc, v4, v6
	v_addc_co_u32_e32 v1, vcc, 0, v1, vcc
	s_lshl_b64 s[8:9], s[4:5], 2
	v_mov_b32_e32 v5, s9
	v_add_co_u32_e32 v4, vcc, s8, v4
	v_addc_co_u32_e32 v5, vcc, v1, v5, vcc
	global_load_dword v1, v[4:5], off
	s_waitcnt vmcnt(0)
	v_fma_f32 v1, s38, v1, v0
	global_store_dword v[4:5], v1, off
.LBB18_20:
	s_cbranch_execz .LBB18_23
.LBB18_21:
	s_endpgm
.LBB18_22:
.LBB18_23:
	s_add_i32 s5, s11, s10
	s_add_i32 s5, s5, s12
	s_mov_b64 s[8:9], -1
	s_and_b64 vcc, exec, s[6:7]
	s_cbranch_vccz .LBB18_25
; %bb.24:
	v_mad_u64_u32 v[4:5], s[6:7], v7, s2, 0
	v_mov_b32_e32 v8, v5
	v_mad_u64_u32 v[8:9], s[6:7], v7, s3, v[8:9]
	v_mov_b32_e32 v5, v8
	v_lshlrev_b64 v[4:5], 2, v[4:5]
	v_mov_b32_e32 v1, s1
	v_add_co_u32_e32 v7, vcc, s0, v4
	v_addc_co_u32_e32 v1, vcc, v1, v5, vcc
	v_lshlrev_b64 v[4:5], 2, v[2:3]
	v_add_co_u32_e32 v4, vcc, v7, v4
	v_addc_co_u32_e32 v1, vcc, v1, v5, vcc
	s_lshl_b64 s[6:7], s[4:5], 2
	v_mov_b32_e32 v5, s7
	v_add_co_u32_e32 v4, vcc, s6, v4
	v_addc_co_u32_e32 v5, vcc, v1, v5, vcc
	global_store_dword v[4:5], v0, off
	s_mov_b64 s[8:9], 0
.LBB18_25:
	s_andn2_b64 vcc, exec, s[8:9]
	s_cbranch_vccnz .LBB18_21
; %bb.26:
	v_mul_lo_u32 v1, v3, s2
	v_mul_lo_u32 v4, v2, s3
	v_mad_u64_u32 v[2:3], s[2:3], v2, s2, 0
	v_add3_u32 v3, v3, v4, v1
	v_lshlrev_b64 v[2:3], 2, v[2:3]
	v_mov_b32_e32 v1, s1
	v_add_co_u32_e32 v2, vcc, s0, v2
	v_addc_co_u32_e32 v1, vcc, v1, v3, vcc
	v_add_co_u32_e32 v2, vcc, v2, v6
	v_addc_co_u32_e32 v1, vcc, 0, v1, vcc
	s_lshl_b64 s[0:1], s[4:5], 2
	v_mov_b32_e32 v3, s1
	v_add_co_u32_e32 v2, vcc, s0, v2
	v_addc_co_u32_e32 v3, vcc, v1, v3, vcc
	global_store_dword v[2:3], v0, off
	s_endpgm
	.section	.rodata,"a",@progbits
	.p2align	6, 0x0
	.amdhsa_kernel _ZN9rocsparse31csrmmnn_row_split_shared_kernelILj256ELj8EfiiaafEEvNS_24const_host_device_scalarIT1_EES3_bbbT3_S4_llPKT2_PKS4_PKT4_PKT5_llPT6_ll16rocsparse_order_21rocsparse_index_base_
		.amdhsa_group_segment_fixed_size 2048
		.amdhsa_private_segment_fixed_size 0
		.amdhsa_kernarg_size 128
		.amdhsa_user_sgpr_count 6
		.amdhsa_user_sgpr_private_segment_buffer 1
		.amdhsa_user_sgpr_dispatch_ptr 0
		.amdhsa_user_sgpr_queue_ptr 0
		.amdhsa_user_sgpr_kernarg_segment_ptr 1
		.amdhsa_user_sgpr_dispatch_id 0
		.amdhsa_user_sgpr_flat_scratch_init 0
		.amdhsa_user_sgpr_kernarg_preload_length 0
		.amdhsa_user_sgpr_kernarg_preload_offset 0
		.amdhsa_user_sgpr_private_segment_size 0
		.amdhsa_uses_dynamic_stack 0
		.amdhsa_system_sgpr_private_segment_wavefront_offset 0
		.amdhsa_system_sgpr_workgroup_id_x 1
		.amdhsa_system_sgpr_workgroup_id_y 1
		.amdhsa_system_sgpr_workgroup_id_z 1
		.amdhsa_system_sgpr_workgroup_info 0
		.amdhsa_system_vgpr_workitem_id 0
		.amdhsa_next_free_vgpr 37
		.amdhsa_next_free_sgpr 44
		.amdhsa_accum_offset 40
		.amdhsa_reserve_vcc 1
		.amdhsa_reserve_flat_scratch 0
		.amdhsa_float_round_mode_32 0
		.amdhsa_float_round_mode_16_64 0
		.amdhsa_float_denorm_mode_32 3
		.amdhsa_float_denorm_mode_16_64 3
		.amdhsa_dx10_clamp 1
		.amdhsa_ieee_mode 1
		.amdhsa_fp16_overflow 0
		.amdhsa_tg_split 0
		.amdhsa_exception_fp_ieee_invalid_op 0
		.amdhsa_exception_fp_denorm_src 0
		.amdhsa_exception_fp_ieee_div_zero 0
		.amdhsa_exception_fp_ieee_overflow 0
		.amdhsa_exception_fp_ieee_underflow 0
		.amdhsa_exception_fp_ieee_inexact 0
		.amdhsa_exception_int_div_zero 0
	.end_amdhsa_kernel
	.section	.text._ZN9rocsparse31csrmmnn_row_split_shared_kernelILj256ELj8EfiiaafEEvNS_24const_host_device_scalarIT1_EES3_bbbT3_S4_llPKT2_PKS4_PKT4_PKT5_llPT6_ll16rocsparse_order_21rocsparse_index_base_,"axG",@progbits,_ZN9rocsparse31csrmmnn_row_split_shared_kernelILj256ELj8EfiiaafEEvNS_24const_host_device_scalarIT1_EES3_bbbT3_S4_llPKT2_PKS4_PKT4_PKT5_llPT6_ll16rocsparse_order_21rocsparse_index_base_,comdat
.Lfunc_end18:
	.size	_ZN9rocsparse31csrmmnn_row_split_shared_kernelILj256ELj8EfiiaafEEvNS_24const_host_device_scalarIT1_EES3_bbbT3_S4_llPKT2_PKS4_PKT4_PKT5_llPT6_ll16rocsparse_order_21rocsparse_index_base_, .Lfunc_end18-_ZN9rocsparse31csrmmnn_row_split_shared_kernelILj256ELj8EfiiaafEEvNS_24const_host_device_scalarIT1_EES3_bbbT3_S4_llPKT2_PKS4_PKT4_PKT5_llPT6_ll16rocsparse_order_21rocsparse_index_base_
                                        ; -- End function
	.section	.AMDGPU.csdata,"",@progbits
; Kernel info:
; codeLenInByte = 1476
; NumSgprs: 48
; NumVgprs: 37
; NumAgprs: 0
; TotalNumVgprs: 37
; ScratchSize: 0
; MemoryBound: 0
; FloatMode: 240
; IeeeMode: 1
; LDSByteSize: 2048 bytes/workgroup (compile time only)
; SGPRBlocks: 5
; VGPRBlocks: 4
; NumSGPRsForWavesPerEU: 48
; NumVGPRsForWavesPerEU: 37
; AccumOffset: 40
; Occupancy: 8
; WaveLimiterHint : 1
; COMPUTE_PGM_RSRC2:SCRATCH_EN: 0
; COMPUTE_PGM_RSRC2:USER_SGPR: 6
; COMPUTE_PGM_RSRC2:TRAP_HANDLER: 0
; COMPUTE_PGM_RSRC2:TGID_X_EN: 1
; COMPUTE_PGM_RSRC2:TGID_Y_EN: 1
; COMPUTE_PGM_RSRC2:TGID_Z_EN: 1
; COMPUTE_PGM_RSRC2:TIDIG_COMP_CNT: 0
; COMPUTE_PGM_RSRC3_GFX90A:ACCUM_OFFSET: 9
; COMPUTE_PGM_RSRC3_GFX90A:TG_SPLIT: 0
	.section	.text._ZN9rocsparse31csrmmnn_row_split_shared_kernelILj256ELj8EfliaafEEvNS_24const_host_device_scalarIT1_EES3_bbbT3_S4_llPKT2_PKS4_PKT4_PKT5_llPT6_ll16rocsparse_order_21rocsparse_index_base_,"axG",@progbits,_ZN9rocsparse31csrmmnn_row_split_shared_kernelILj256ELj8EfliaafEEvNS_24const_host_device_scalarIT1_EES3_bbbT3_S4_llPKT2_PKS4_PKT4_PKT5_llPT6_ll16rocsparse_order_21rocsparse_index_base_,comdat
	.protected	_ZN9rocsparse31csrmmnn_row_split_shared_kernelILj256ELj8EfliaafEEvNS_24const_host_device_scalarIT1_EES3_bbbT3_S4_llPKT2_PKS4_PKT4_PKT5_llPT6_ll16rocsparse_order_21rocsparse_index_base_ ; -- Begin function _ZN9rocsparse31csrmmnn_row_split_shared_kernelILj256ELj8EfliaafEEvNS_24const_host_device_scalarIT1_EES3_bbbT3_S4_llPKT2_PKS4_PKT4_PKT5_llPT6_ll16rocsparse_order_21rocsparse_index_base_
	.globl	_ZN9rocsparse31csrmmnn_row_split_shared_kernelILj256ELj8EfliaafEEvNS_24const_host_device_scalarIT1_EES3_bbbT3_S4_llPKT2_PKS4_PKT4_PKT5_llPT6_ll16rocsparse_order_21rocsparse_index_base_
	.p2align	8
	.type	_ZN9rocsparse31csrmmnn_row_split_shared_kernelILj256ELj8EfliaafEEvNS_24const_host_device_scalarIT1_EES3_bbbT3_S4_llPKT2_PKS4_PKT4_PKT5_llPT6_ll16rocsparse_order_21rocsparse_index_base_,@function
_ZN9rocsparse31csrmmnn_row_split_shared_kernelILj256ELj8EfliaafEEvNS_24const_host_device_scalarIT1_EES3_bbbT3_S4_llPKT2_PKS4_PKT4_PKT5_llPT6_ll16rocsparse_order_21rocsparse_index_base_: ; @_ZN9rocsparse31csrmmnn_row_split_shared_kernelILj256ELj8EfliaafEEvNS_24const_host_device_scalarIT1_EES3_bbbT3_S4_llPKT2_PKS4_PKT4_PKT5_llPT6_ll16rocsparse_order_21rocsparse_index_base_
; %bb.0:
	s_load_dwordx8 s[36:43], s[4:5], 0x0
	s_waitcnt lgkmcnt(0)
	s_bitcmp1_b32 s40, 0
	s_cselect_b64 s[2:3], -1, 0
	s_xor_b64 s[0:1], s[2:3], -1
	s_and_b64 vcc, exec, s[2:3]
	s_cbranch_vccnz .LBB19_2
; %bb.1:
	s_load_dword s36, s[36:37], 0x0
.LBB19_2:
	s_andn2_b64 vcc, exec, s[0:1]
	s_cbranch_vccnz .LBB19_4
; %bb.3:
	s_load_dword s38, s[38:39], 0x0
.LBB19_4:
	s_waitcnt lgkmcnt(0)
	v_cmp_eq_f32_e64 s[0:1], s36, 0
	v_cmp_eq_f32_e64 s[2:3], s38, 1.0
	s_and_b64 s[0:1], s[0:1], s[2:3]
	s_and_b64 vcc, exec, s[0:1]
	s_cbranch_vccnz .LBB19_21
; %bb.5:
	v_lshl_or_b32 v1, s6, 8, v0
	v_lshrrev_b32_e32 v9, 3, v1
	v_cmp_gt_i32_e32 vcc, s41, v9
	s_and_saveexec_b64 s[0:1], vcc
	s_cbranch_execz .LBB19_21
; %bb.6:
	s_load_dwordx16 s[12:27], s[4:5], 0x20
	s_ashr_i32 s9, s8, 31
	v_lshlrev_b32_e32 v1, 3, v9
	s_load_dwordx2 s[10:11], s[4:5], 0x78
	v_and_b32_e32 v8, 7, v0
	s_waitcnt lgkmcnt(0)
	s_mul_i32 s1, s8, s13
	s_mul_hi_u32 s2, s8, s12
	s_mul_i32 s3, s9, s12
	s_add_i32 s1, s2, s1
	s_mul_i32 s0, s8, s12
	s_add_i32 s1, s1, s3
	s_lshl_b64 s[0:1], s[0:1], 3
	s_add_u32 s0, s16, s0
	s_addc_u32 s1, s17, s1
	global_load_dwordx4 v[2:5], v1, s[0:1]
	v_lshl_or_b32 v6, s7, 3, v8
	v_ashrrev_i32_e32 v7, 31, v6
	v_mov_b32_e32 v12, 0
	s_waitcnt vmcnt(0)
	v_cmp_lt_i64_e32 vcc, v[2:3], v[4:5]
	s_and_saveexec_b64 s[2:3], vcc
	s_cbranch_execz .LBB19_14
; %bb.7:
	v_lshlrev_b32_e32 v0, 2, v0
	v_and_b32_e32 v13, 0x3e0, v0
	s_mul_i32 s1, s9, s14
	s_mul_i32 s7, s8, s15
	v_mov_b32_e32 v18, s22
	v_mov_b32_e32 v19, s23
	v_lshlrev_b32_e32 v1, 2, v8
	v_or_b32_e32 v15, 0x400, v13
	s_mul_hi_u32 s0, s8, s14
	s_add_i32 s7, s7, s1
	v_or_b32_e32 v14, v13, v1
	v_or_b32_e32 v16, v15, v1
	s_add_i32 s12, s7, s0
	v_mul_lo_u32 v17, v6, s25
	v_mul_lo_u32 v20, v7, s24
	v_mad_u64_u32 v[0:1], s[0:1], v6, s24, v[18:19]
	s_mov_b32 s6, s11
	v_add3_u32 v1, v20, v1, v17
	v_mov_b32_e32 v17, s26
	v_subrev_co_u32_e32 v4, vcc, s6, v4
	v_mad_u64_u32 v[0:1], s[0:1], s8, v17, v[0:1]
	v_subbrev_co_u32_e32 v5, vcc, 0, v5, vcc
	s_mul_i32 s0, s9, s26
	s_mul_i32 s1, s8, s27
	v_subrev_co_u32_e32 v10, vcc, s6, v2
	s_add_i32 s1, s1, s0
	v_mov_b32_e32 v17, s14
	v_subbrev_co_u32_e32 v11, vcc, 0, v3, vcc
	v_add_u32_e32 v1, s1, v1
	v_mad_u64_u32 v[2:3], s[0:1], s8, v17, v[2:3]
	v_add_u32_e32 v3, s7, v3
	v_add_co_u32_e64 v2, s[0:1], v2, v8
	v_addc_co_u32_e64 v3, s[0:1], 0, v3, s[0:1]
	v_subrev_co_u32_e64 v2, s[0:1], s6, v2
	v_subbrev_co_u32_e64 v3, s[0:1], 0, v3, s[0:1]
	v_lshlrev_b64 v[2:3], 2, v[2:3]
	v_mov_b32_e32 v17, s19
	v_add_co_u32_e64 v2, s[0:1], s18, v2
	s_mul_i32 s13, s8, s14
	v_addc_co_u32_e64 v3, s[0:1], v17, v3, s[0:1]
	s_add_u32 s0, s20, s13
	s_addc_u32 s1, s21, s12
	v_mov_b32_e32 v18, s1
	v_add_co_u32_e64 v17, s[0:1], s0, v8
	v_mov_b32_e32 v12, 0
	v_cmp_gt_i32_e32 vcc, s42, v6
	v_addc_co_u32_e64 v18, s[0:1], 0, v18, s[0:1]
	s_mov_b64 s[6:7], 0
	s_branch .LBB19_9
.LBB19_8:                               ;   in Loop: Header=BB19_9 Depth=1
	s_or_b64 exec, exec, s[12:13]
	v_add_co_u32_e64 v10, s[0:1], 8, v10
	v_addc_co_u32_e64 v11, s[0:1], 0, v11, s[0:1]
	v_cmp_ge_i64_e64 s[0:1], v[10:11], v[4:5]
	s_or_b64 s[6:7], s[0:1], s[6:7]
	v_add_co_u32_e64 v2, s[0:1], 32, v2
	v_addc_co_u32_e64 v3, s[0:1], 0, v3, s[0:1]
	s_andn2_b64 exec, exec, s[6:7]
	s_cbranch_execz .LBB19_13
.LBB19_9:                               ; =>This Inner Loop Header: Depth=1
	v_add_co_u32_e64 v20, s[0:1], v8, v10
	v_addc_co_u32_e64 v21, s[0:1], 0, v11, s[0:1]
	v_cmp_lt_i64_e64 s[0:1], v[20:21], v[4:5]
	v_mov_b32_e32 v20, 0
	v_mov_b32_e32 v19, 0
	s_barrier
	s_and_saveexec_b64 s[12:13], s[0:1]
	s_cbranch_execz .LBB19_11
; %bb.10:                               ;   in Loop: Header=BB19_9 Depth=1
	v_add_co_u32_e64 v20, s[0:1], v17, v10
	v_addc_co_u32_e64 v21, s[0:1], v18, v11, s[0:1]
	global_load_sbyte v19, v[20:21], off
	global_load_dword v22, v[2:3], off
	s_waitcnt vmcnt(1)
	v_cvt_f32_i32_e32 v19, v19
	s_waitcnt vmcnt(0)
	v_subrev_u32_e32 v20, s11, v22
.LBB19_11:                              ;   in Loop: Header=BB19_9 Depth=1
	s_or_b64 exec, exec, s[12:13]
	ds_write_b32 v14, v20
	ds_write_b32 v16, v19
	s_waitcnt lgkmcnt(0)
	s_barrier
	s_and_saveexec_b64 s[12:13], vcc
	s_cbranch_execz .LBB19_8
; %bb.12:                               ;   in Loop: Header=BB19_9 Depth=1
	ds_read_b128 v[20:23], v13
	ds_read_b128 v[24:27], v13 offset:16
	s_waitcnt lgkmcnt(1)
	v_ashrrev_i32_e32 v19, 31, v20
	v_add_co_u32_e64 v28, s[0:1], v0, v20
	v_addc_co_u32_e64 v29, s[0:1], v1, v19, s[0:1]
	v_ashrrev_i32_e32 v19, 31, v21
	v_add_co_u32_e64 v20, s[0:1], v0, v21
	v_addc_co_u32_e64 v21, s[0:1], v1, v19, s[0:1]
	;; [unrolled: 3-line block ×4, first 2 shown]
	s_waitcnt lgkmcnt(0)
	v_ashrrev_i32_e32 v19, 31, v24
	v_add_co_u32_e64 v32, s[0:1], v0, v24
	v_addc_co_u32_e64 v33, s[0:1], v1, v19, s[0:1]
	v_ashrrev_i32_e32 v19, 31, v25
	v_add_co_u32_e64 v24, s[0:1], v0, v25
	v_addc_co_u32_e64 v25, s[0:1], v1, v19, s[0:1]
	;; [unrolled: 3-line block ×3, first 2 shown]
	global_load_sbyte v19, v[28:29], off
	global_load_sbyte v36, v[20:21], off
	;; [unrolled: 1-line block ×7, first 2 shown]
	v_ashrrev_i32_e32 v21, 31, v27
	v_add_co_u32_e64 v20, s[0:1], v0, v27
	v_addc_co_u32_e64 v21, s[0:1], v1, v21, s[0:1]
	global_load_sbyte v28, v[20:21], off
	ds_read_b128 v[20:23], v15
	ds_read_b128 v[24:27], v15 offset:16
	s_waitcnt vmcnt(7)
	v_cvt_f32_i32_e32 v19, v19
	s_waitcnt vmcnt(6)
	v_cvt_f32_i32_e32 v29, v36
	;; [unrolled: 2-line block ×5, first 2 shown]
	s_waitcnt lgkmcnt(1)
	v_fmac_f32_e32 v12, v20, v19
	s_waitcnt vmcnt(2)
	v_cvt_f32_i32_e32 v33, v40
	v_fmac_f32_e32 v12, v21, v29
	s_waitcnt vmcnt(1)
	v_cvt_f32_i32_e32 v34, v41
	v_fmac_f32_e32 v12, v22, v30
	v_fmac_f32_e32 v12, v23, v31
	s_waitcnt lgkmcnt(0)
	v_fmac_f32_e32 v12, v24, v32
	s_waitcnt vmcnt(0)
	v_cvt_f32_i32_e32 v19, v28
	v_fmac_f32_e32 v12, v25, v33
	v_fmac_f32_e32 v12, v26, v34
	v_fmac_f32_e32 v12, v27, v19
	s_branch .LBB19_8
.LBB19_13:
	s_or_b64 exec, exec, s[6:7]
.LBB19_14:
	s_or_b64 exec, exec, s[2:3]
	v_cmp_gt_i32_e32 vcc, s42, v6
	s_and_b64 exec, exec, vcc
	s_cbranch_execz .LBB19_21
; %bb.15:
	s_load_dwordx4 s[0:3], s[4:5], 0x60
	s_load_dwordx2 s[14:15], s[4:5], 0x70
	v_cmp_neq_f32_e64 s[4:5], s38, 0
	s_cmp_lg_u32 s10, 1
	s_cselect_b64 s[6:7], -1, 0
	s_and_b64 vcc, exec, s[4:5]
	v_mul_f32_e32 v0, s36, v12
	s_waitcnt lgkmcnt(0)
	s_mul_i32 s10, s8, s15
	s_mul_hi_u32 s11, s8, s14
	s_mul_i32 s12, s9, s14
	s_mul_i32 s4, s8, s14
	s_cbranch_vccz .LBB19_22
; %bb.16:
	s_add_i32 s5, s11, s10
	s_add_i32 s5, s5, s12
	s_mov_b64 s[8:9], -1
	s_and_b64 vcc, exec, s[6:7]
	s_cbranch_vccz .LBB19_18
; %bb.17:
	v_mad_u64_u32 v[2:3], s[8:9], v9, s2, 0
	v_mov_b32_e32 v4, v3
	v_mad_u64_u32 v[4:5], s[8:9], v9, s3, v[4:5]
	v_mov_b32_e32 v3, v4
	v_lshlrev_b64 v[2:3], 2, v[2:3]
	v_mov_b32_e32 v1, s1
	v_add_co_u32_e32 v4, vcc, s0, v2
	v_addc_co_u32_e32 v1, vcc, v1, v3, vcc
	v_lshlrev_b64 v[2:3], 2, v[6:7]
	v_add_co_u32_e32 v2, vcc, v4, v2
	v_addc_co_u32_e32 v1, vcc, v1, v3, vcc
	s_lshl_b64 s[8:9], s[4:5], 2
	v_mov_b32_e32 v3, s9
	v_add_co_u32_e32 v2, vcc, s8, v2
	v_addc_co_u32_e32 v3, vcc, v1, v3, vcc
	global_load_dword v1, v[2:3], off
	s_mov_b64 s[8:9], 0
	s_waitcnt vmcnt(0)
	v_fma_f32 v1, s38, v1, v0
	global_store_dword v[2:3], v1, off
.LBB19_18:
	s_andn2_b64 vcc, exec, s[8:9]
	s_cbranch_vccnz .LBB19_20
; %bb.19:
	v_mul_lo_u32 v1, v7, s2
	v_mul_lo_u32 v4, v6, s3
	v_mad_u64_u32 v[2:3], s[8:9], v6, s2, 0
	v_add3_u32 v3, v3, v4, v1
	v_lshlrev_b64 v[2:3], 2, v[2:3]
	v_mov_b32_e32 v1, s1
	v_add_co_u32_e32 v2, vcc, s0, v2
	v_addc_co_u32_e32 v1, vcc, v1, v3, vcc
	v_lshlrev_b32_e32 v3, 2, v9
	v_add_co_u32_e32 v2, vcc, v2, v3
	v_addc_co_u32_e32 v1, vcc, 0, v1, vcc
	s_lshl_b64 s[8:9], s[4:5], 2
	v_mov_b32_e32 v3, s9
	v_add_co_u32_e32 v2, vcc, s8, v2
	v_addc_co_u32_e32 v3, vcc, v1, v3, vcc
	global_load_dword v1, v[2:3], off
	s_waitcnt vmcnt(0)
	v_fma_f32 v1, s38, v1, v0
	global_store_dword v[2:3], v1, off
.LBB19_20:
	s_cbranch_execz .LBB19_23
.LBB19_21:
	s_endpgm
.LBB19_22:
.LBB19_23:
	s_add_i32 s5, s11, s10
	s_add_i32 s5, s5, s12
	s_mov_b64 s[8:9], -1
	s_and_b64 vcc, exec, s[6:7]
	s_cbranch_vccz .LBB19_25
; %bb.24:
	v_mad_u64_u32 v[2:3], s[6:7], v9, s2, 0
	v_mov_b32_e32 v4, v3
	v_mad_u64_u32 v[4:5], s[6:7], v9, s3, v[4:5]
	v_mov_b32_e32 v3, v4
	v_lshlrev_b64 v[2:3], 2, v[2:3]
	v_mov_b32_e32 v1, s1
	v_add_co_u32_e32 v4, vcc, s0, v2
	v_addc_co_u32_e32 v1, vcc, v1, v3, vcc
	v_lshlrev_b64 v[2:3], 2, v[6:7]
	v_add_co_u32_e32 v2, vcc, v4, v2
	v_addc_co_u32_e32 v1, vcc, v1, v3, vcc
	s_lshl_b64 s[6:7], s[4:5], 2
	v_mov_b32_e32 v3, s7
	v_add_co_u32_e32 v2, vcc, s6, v2
	v_addc_co_u32_e32 v3, vcc, v1, v3, vcc
	global_store_dword v[2:3], v0, off
	s_mov_b64 s[8:9], 0
.LBB19_25:
	s_andn2_b64 vcc, exec, s[8:9]
	s_cbranch_vccnz .LBB19_21
; %bb.26:
	v_mul_lo_u32 v1, v7, s2
	v_mul_lo_u32 v4, v6, s3
	v_mad_u64_u32 v[2:3], s[2:3], v6, s2, 0
	v_add3_u32 v3, v3, v4, v1
	v_lshlrev_b64 v[2:3], 2, v[2:3]
	v_mov_b32_e32 v1, s1
	v_add_co_u32_e32 v2, vcc, s0, v2
	v_addc_co_u32_e32 v1, vcc, v1, v3, vcc
	v_lshlrev_b32_e32 v3, 2, v9
	v_add_co_u32_e32 v2, vcc, v2, v3
	v_addc_co_u32_e32 v1, vcc, 0, v1, vcc
	s_lshl_b64 s[0:1], s[4:5], 2
	v_mov_b32_e32 v3, s1
	v_add_co_u32_e32 v2, vcc, s0, v2
	v_addc_co_u32_e32 v3, vcc, v1, v3, vcc
	global_store_dword v[2:3], v0, off
	s_endpgm
	.section	.rodata,"a",@progbits
	.p2align	6, 0x0
	.amdhsa_kernel _ZN9rocsparse31csrmmnn_row_split_shared_kernelILj256ELj8EfliaafEEvNS_24const_host_device_scalarIT1_EES3_bbbT3_S4_llPKT2_PKS4_PKT4_PKT5_llPT6_ll16rocsparse_order_21rocsparse_index_base_
		.amdhsa_group_segment_fixed_size 2048
		.amdhsa_private_segment_fixed_size 0
		.amdhsa_kernarg_size 128
		.amdhsa_user_sgpr_count 6
		.amdhsa_user_sgpr_private_segment_buffer 1
		.amdhsa_user_sgpr_dispatch_ptr 0
		.amdhsa_user_sgpr_queue_ptr 0
		.amdhsa_user_sgpr_kernarg_segment_ptr 1
		.amdhsa_user_sgpr_dispatch_id 0
		.amdhsa_user_sgpr_flat_scratch_init 0
		.amdhsa_user_sgpr_kernarg_preload_length 0
		.amdhsa_user_sgpr_kernarg_preload_offset 0
		.amdhsa_user_sgpr_private_segment_size 0
		.amdhsa_uses_dynamic_stack 0
		.amdhsa_system_sgpr_private_segment_wavefront_offset 0
		.amdhsa_system_sgpr_workgroup_id_x 1
		.amdhsa_system_sgpr_workgroup_id_y 1
		.amdhsa_system_sgpr_workgroup_id_z 1
		.amdhsa_system_sgpr_workgroup_info 0
		.amdhsa_system_vgpr_workitem_id 0
		.amdhsa_next_free_vgpr 42
		.amdhsa_next_free_sgpr 44
		.amdhsa_accum_offset 44
		.amdhsa_reserve_vcc 1
		.amdhsa_reserve_flat_scratch 0
		.amdhsa_float_round_mode_32 0
		.amdhsa_float_round_mode_16_64 0
		.amdhsa_float_denorm_mode_32 3
		.amdhsa_float_denorm_mode_16_64 3
		.amdhsa_dx10_clamp 1
		.amdhsa_ieee_mode 1
		.amdhsa_fp16_overflow 0
		.amdhsa_tg_split 0
		.amdhsa_exception_fp_ieee_invalid_op 0
		.amdhsa_exception_fp_denorm_src 0
		.amdhsa_exception_fp_ieee_div_zero 0
		.amdhsa_exception_fp_ieee_overflow 0
		.amdhsa_exception_fp_ieee_underflow 0
		.amdhsa_exception_fp_ieee_inexact 0
		.amdhsa_exception_int_div_zero 0
	.end_amdhsa_kernel
	.section	.text._ZN9rocsparse31csrmmnn_row_split_shared_kernelILj256ELj8EfliaafEEvNS_24const_host_device_scalarIT1_EES3_bbbT3_S4_llPKT2_PKS4_PKT4_PKT5_llPT6_ll16rocsparse_order_21rocsparse_index_base_,"axG",@progbits,_ZN9rocsparse31csrmmnn_row_split_shared_kernelILj256ELj8EfliaafEEvNS_24const_host_device_scalarIT1_EES3_bbbT3_S4_llPKT2_PKS4_PKT4_PKT5_llPT6_ll16rocsparse_order_21rocsparse_index_base_,comdat
.Lfunc_end19:
	.size	_ZN9rocsparse31csrmmnn_row_split_shared_kernelILj256ELj8EfliaafEEvNS_24const_host_device_scalarIT1_EES3_bbbT3_S4_llPKT2_PKS4_PKT4_PKT5_llPT6_ll16rocsparse_order_21rocsparse_index_base_, .Lfunc_end19-_ZN9rocsparse31csrmmnn_row_split_shared_kernelILj256ELj8EfliaafEEvNS_24const_host_device_scalarIT1_EES3_bbbT3_S4_llPKT2_PKS4_PKT4_PKT5_llPT6_ll16rocsparse_order_21rocsparse_index_base_
                                        ; -- End function
	.section	.AMDGPU.csdata,"",@progbits
; Kernel info:
; codeLenInByte = 1584
; NumSgprs: 48
; NumVgprs: 42
; NumAgprs: 0
; TotalNumVgprs: 42
; ScratchSize: 0
; MemoryBound: 0
; FloatMode: 240
; IeeeMode: 1
; LDSByteSize: 2048 bytes/workgroup (compile time only)
; SGPRBlocks: 5
; VGPRBlocks: 5
; NumSGPRsForWavesPerEU: 48
; NumVGPRsForWavesPerEU: 42
; AccumOffset: 44
; Occupancy: 8
; WaveLimiterHint : 1
; COMPUTE_PGM_RSRC2:SCRATCH_EN: 0
; COMPUTE_PGM_RSRC2:USER_SGPR: 6
; COMPUTE_PGM_RSRC2:TRAP_HANDLER: 0
; COMPUTE_PGM_RSRC2:TGID_X_EN: 1
; COMPUTE_PGM_RSRC2:TGID_Y_EN: 1
; COMPUTE_PGM_RSRC2:TGID_Z_EN: 1
; COMPUTE_PGM_RSRC2:TIDIG_COMP_CNT: 0
; COMPUTE_PGM_RSRC3_GFX90A:ACCUM_OFFSET: 10
; COMPUTE_PGM_RSRC3_GFX90A:TG_SPLIT: 0
	.section	.text._ZN9rocsparse31csrmmnn_row_split_shared_kernelILj256ELj8EfllaafEEvNS_24const_host_device_scalarIT1_EES3_bbbT3_S4_llPKT2_PKS4_PKT4_PKT5_llPT6_ll16rocsparse_order_21rocsparse_index_base_,"axG",@progbits,_ZN9rocsparse31csrmmnn_row_split_shared_kernelILj256ELj8EfllaafEEvNS_24const_host_device_scalarIT1_EES3_bbbT3_S4_llPKT2_PKS4_PKT4_PKT5_llPT6_ll16rocsparse_order_21rocsparse_index_base_,comdat
	.protected	_ZN9rocsparse31csrmmnn_row_split_shared_kernelILj256ELj8EfllaafEEvNS_24const_host_device_scalarIT1_EES3_bbbT3_S4_llPKT2_PKS4_PKT4_PKT5_llPT6_ll16rocsparse_order_21rocsparse_index_base_ ; -- Begin function _ZN9rocsparse31csrmmnn_row_split_shared_kernelILj256ELj8EfllaafEEvNS_24const_host_device_scalarIT1_EES3_bbbT3_S4_llPKT2_PKS4_PKT4_PKT5_llPT6_ll16rocsparse_order_21rocsparse_index_base_
	.globl	_ZN9rocsparse31csrmmnn_row_split_shared_kernelILj256ELj8EfllaafEEvNS_24const_host_device_scalarIT1_EES3_bbbT3_S4_llPKT2_PKS4_PKT4_PKT5_llPT6_ll16rocsparse_order_21rocsparse_index_base_
	.p2align	8
	.type	_ZN9rocsparse31csrmmnn_row_split_shared_kernelILj256ELj8EfllaafEEvNS_24const_host_device_scalarIT1_EES3_bbbT3_S4_llPKT2_PKS4_PKT4_PKT5_llPT6_ll16rocsparse_order_21rocsparse_index_base_,@function
_ZN9rocsparse31csrmmnn_row_split_shared_kernelILj256ELj8EfllaafEEvNS_24const_host_device_scalarIT1_EES3_bbbT3_S4_llPKT2_PKS4_PKT4_PKT5_llPT6_ll16rocsparse_order_21rocsparse_index_base_: ; @_ZN9rocsparse31csrmmnn_row_split_shared_kernelILj256ELj8EfllaafEEvNS_24const_host_device_scalarIT1_EES3_bbbT3_S4_llPKT2_PKS4_PKT4_PKT5_llPT6_ll16rocsparse_order_21rocsparse_index_base_
; %bb.0:
	s_load_dword s0, s[4:5], 0x10
	s_load_dwordx4 s[28:31], s[4:5], 0x0
	s_waitcnt lgkmcnt(0)
	s_bitcmp1_b32 s0, 0
	s_cselect_b64 s[2:3], -1, 0
	s_xor_b64 s[0:1], s[2:3], -1
	s_and_b64 vcc, exec, s[2:3]
	s_cbranch_vccnz .LBB20_2
; %bb.1:
	s_load_dword s28, s[28:29], 0x0
.LBB20_2:
	s_andn2_b64 vcc, exec, s[0:1]
	s_cbranch_vccnz .LBB20_4
; %bb.3:
	s_load_dword s30, s[30:31], 0x0
.LBB20_4:
	s_waitcnt lgkmcnt(0)
	v_cmp_eq_f32_e64 s[0:1], s28, 0
	v_cmp_eq_f32_e64 s[2:3], s30, 1.0
	s_and_b64 s[0:1], s[0:1], s[2:3]
	s_and_b64 vcc, exec, s[0:1]
	s_cbranch_vccnz .LBB20_21
; %bb.5:
	s_load_dwordx16 s[12:27], s[4:5], 0x18
	v_lshl_or_b32 v1, s6, 8, v0
	v_lshrrev_b32_e32 v6, 3, v1
	v_mov_b32_e32 v7, 0
	s_waitcnt lgkmcnt(0)
	v_cmp_gt_i64_e32 vcc, s[12:13], v[6:7]
	s_and_saveexec_b64 s[0:1], vcc
	s_cbranch_execz .LBB20_21
; %bb.6:
	s_mul_i32 s0, s8, s17
	s_mul_hi_u32 s1, s8, s16
	s_add_i32 s1, s1, s0
	s_mul_i32 s0, s8, s16
	s_lshl_b64 s[0:1], s[0:1], 3
	s_add_u32 s0, s20, s0
	s_addc_u32 s1, s21, s1
	v_lshlrev_b32_e32 v1, 3, v6
	global_load_dwordx4 v[2:5], v1, s[0:1]
	s_load_dwordx8 s[36:43], s[4:5], 0x58
	s_load_dwordx4 s[44:47], s[4:5], 0x78
	v_and_b32_e32 v10, 7, v0
	v_lshl_or_b32 v8, s7, 3, v10
	s_mov_b32 s9, 0
	v_mov_b32_e32 v9, 0
	s_waitcnt vmcnt(0)
	v_cmp_lt_i64_e32 vcc, v[2:3], v[4:5]
	s_and_saveexec_b64 s[2:3], vcc
	s_cbranch_execz .LBB20_14
; %bb.7:
	v_mov_b32_e32 v12, s26
	v_mov_b32_e32 v13, s27
	s_mul_i32 s4, s8, s19
	s_mul_hi_u32 s0, s8, s18
	v_lshrrev_b32_e32 v7, 3, v0
	v_mov_b32_e32 v14, 0x800
	s_add_i32 s5, s0, s4
	s_waitcnt lgkmcnt(0)
	v_mad_u64_u32 v[12:13], s[0:1], v8, s36, v[12:13]
	v_lshl_or_b32 v17, v7, 5, v14
	v_mov_b32_e32 v14, v13
	s_mov_b32 s10, s47
	v_mad_u64_u32 v[14:15], s[0:1], v8, s37, v[14:15]
	v_subrev_co_u32_e32 v4, vcc, s10, v4
	v_lshlrev_b32_e32 v11, 6, v7
	v_mov_b32_e32 v13, v14
	v_mov_b32_e32 v7, s38
	v_subbrev_co_u32_e32 v5, vcc, 0, v5, vcc
	v_mad_u64_u32 v[12:13], s[0:1], s8, v7, v[12:13]
	v_subrev_co_u32_e32 v0, vcc, s10, v2
	s_mul_i32 s0, s8, s39
	v_mov_b32_e32 v7, s18
	v_subbrev_co_u32_e32 v1, vcc, 0, v3, vcc
	v_add_u32_e32 v13, s0, v13
	v_mad_u64_u32 v[2:3], s[0:1], s8, v7, v[2:3]
	v_add_u32_e32 v3, s4, v3
	v_add_co_u32_e64 v2, s[0:1], v2, v10
	v_addc_co_u32_e64 v3, s[0:1], 0, v3, s[0:1]
	v_subrev_co_u32_e64 v2, s[0:1], s10, v2
	v_subbrev_co_u32_e64 v3, s[0:1], 0, v3, s[0:1]
	v_lshlrev_b64 v[2:3], 3, v[2:3]
	v_mov_b32_e32 v7, s23
	v_add_co_u32_e64 v2, s[0:1], s22, v2
	s_mul_i32 s6, s8, s18
	v_addc_co_u32_e64 v3, s[0:1], v7, v3, s[0:1]
	s_add_u32 s0, s24, s6
	s_addc_u32 s1, s25, s5
	v_mov_b32_e32 v7, s1
	v_add_co_u32_e64 v19, s[0:1], s0, v10
	v_lshl_or_b32 v16, v10, 3, v11
	v_lshl_or_b32 v18, v10, 2, v17
	v_cmp_gt_i64_e32 vcc, s[14:15], v[8:9]
	v_addc_co_u32_e64 v20, s[0:1], 0, v7, s[0:1]
	s_mov_b64 s[4:5], 0
	v_mov_b32_e32 v7, v9
	s_branch .LBB20_9
.LBB20_8:                               ;   in Loop: Header=BB20_9 Depth=1
	s_or_b64 exec, exec, s[6:7]
	v_add_co_u32_e64 v0, s[0:1], 8, v0
	v_addc_co_u32_e64 v1, s[0:1], 0, v1, s[0:1]
	v_cmp_ge_i64_e64 s[0:1], v[0:1], v[4:5]
	s_or_b64 s[4:5], s[0:1], s[4:5]
	v_add_co_u32_e64 v2, s[0:1], 64, v2
	v_addc_co_u32_e64 v3, s[0:1], 0, v3, s[0:1]
	s_andn2_b64 exec, exec, s[4:5]
	s_cbranch_execz .LBB20_13
.LBB20_9:                               ; =>This Inner Loop Header: Depth=1
	v_add_co_u32_e64 v14, s[0:1], v10, v0
	v_addc_co_u32_e64 v15, s[0:1], 0, v1, s[0:1]
	v_cmp_lt_i64_e64 s[0:1], v[14:15], v[4:5]
	v_pk_mov_b32 v[14:15], 0, 0
	v_mov_b32_e32 v21, 0
	s_barrier
	s_and_saveexec_b64 s[6:7], s[0:1]
	s_cbranch_execz .LBB20_11
; %bb.10:                               ;   in Loop: Header=BB20_9 Depth=1
	v_add_co_u32_e64 v14, s[0:1], v19, v0
	v_addc_co_u32_e64 v15, s[0:1], v20, v1, s[0:1]
	global_load_sbyte v21, v[14:15], off
	global_load_dwordx2 v[22:23], v[2:3], off
	v_mov_b32_e32 v15, s9
	s_waitcnt vmcnt(1)
	v_cvt_f32_i32_e32 v21, v21
	s_waitcnt vmcnt(0)
	v_subrev_co_u32_e64 v14, s[0:1], s10, v22
	v_subb_co_u32_e64 v15, s[0:1], v23, v15, s[0:1]
.LBB20_11:                              ;   in Loop: Header=BB20_9 Depth=1
	s_or_b64 exec, exec, s[6:7]
	ds_write_b64 v16, v[14:15]
	ds_write_b32 v18, v21
	s_waitcnt lgkmcnt(0)
	s_barrier
	s_and_saveexec_b64 s[6:7], vcc
	s_cbranch_execz .LBB20_8
; %bb.12:                               ;   in Loop: Header=BB20_9 Depth=1
	ds_read_b128 v[22:25], v11
	ds_read_b128 v[26:29], v11 offset:16
	ds_read_b128 v[30:33], v11 offset:32
	;; [unrolled: 1-line block ×3, first 2 shown]
	s_waitcnt lgkmcnt(3)
	v_add_co_u32_e64 v14, s[0:1], v12, v22
	v_addc_co_u32_e64 v15, s[0:1], v13, v23, s[0:1]
	v_add_co_u32_e64 v22, s[0:1], v12, v24
	v_addc_co_u32_e64 v23, s[0:1], v13, v25, s[0:1]
	s_waitcnt lgkmcnt(2)
	v_add_co_u32_e64 v24, s[0:1], v12, v26
	v_addc_co_u32_e64 v25, s[0:1], v13, v27, s[0:1]
	v_add_co_u32_e64 v26, s[0:1], v12, v28
	v_addc_co_u32_e64 v27, s[0:1], v13, v29, s[0:1]
	;; [unrolled: 5-line block ×3, first 2 shown]
	s_waitcnt lgkmcnt(0)
	v_add_co_u32_e64 v32, s[0:1], v12, v34
	v_addc_co_u32_e64 v33, s[0:1], v13, v35, s[0:1]
	global_load_sbyte v21, v[14:15], off
	global_load_sbyte v34, v[22:23], off
	global_load_sbyte v35, v[24:25], off
	global_load_sbyte v38, v[26:27], off
	global_load_sbyte v39, v[28:29], off
	global_load_sbyte v40, v[30:31], off
	global_load_sbyte v41, v[32:33], off
	v_add_co_u32_e64 v14, s[0:1], v12, v36
	v_addc_co_u32_e64 v15, s[0:1], v13, v37, s[0:1]
	global_load_sbyte v14, v[14:15], off
	ds_read_b128 v[22:25], v17
	ds_read_b128 v[26:29], v17 offset:16
	s_waitcnt vmcnt(7)
	v_cvt_f32_i32_e32 v15, v21
	s_waitcnt vmcnt(6)
	v_cvt_f32_i32_e32 v21, v34
	;; [unrolled: 2-line block ×5, first 2 shown]
	s_waitcnt lgkmcnt(1)
	v_fmac_f32_e32 v7, v22, v15
	s_waitcnt vmcnt(2)
	v_cvt_f32_i32_e32 v33, v40
	v_fmac_f32_e32 v7, v23, v21
	s_waitcnt vmcnt(1)
	v_cvt_f32_i32_e32 v34, v41
	v_fmac_f32_e32 v7, v24, v30
	v_fmac_f32_e32 v7, v25, v31
	s_waitcnt vmcnt(0)
	v_cvt_f32_i32_e32 v14, v14
	s_waitcnt lgkmcnt(0)
	v_fmac_f32_e32 v7, v26, v32
	v_fmac_f32_e32 v7, v27, v33
	;; [unrolled: 1-line block ×4, first 2 shown]
	s_branch .LBB20_8
.LBB20_13:
	s_or_b64 exec, exec, s[4:5]
.LBB20_14:
	s_or_b64 exec, exec, s[2:3]
	v_cmp_gt_i64_e32 vcc, s[14:15], v[8:9]
	s_and_b64 exec, exec, vcc
	s_cbranch_execz .LBB20_21
; %bb.15:
	v_cmp_neq_f32_e64 s[0:1], s30, 0
	s_waitcnt lgkmcnt(0)
	s_cmp_lg_u32 s46, 1
	s_cselect_b64 s[2:3], -1, 0
	s_and_b64 vcc, exec, s[0:1]
	v_mul_f32_e32 v0, s28, v7
	s_mul_i32 s6, s8, s45
	s_mul_hi_u32 s7, s8, s44
	s_mul_i32 s0, s8, s44
	s_cbranch_vccz .LBB20_22
; %bb.16:
	s_add_i32 s1, s7, s6
	s_mov_b64 s[4:5], -1
	s_and_b64 vcc, exec, s[2:3]
	s_cbranch_vccz .LBB20_18
; %bb.17:
	v_mad_u64_u32 v[2:3], s[4:5], v6, s42, 0
	v_mov_b32_e32 v4, v3
	v_mad_u64_u32 v[4:5], s[4:5], v6, s43, v[4:5]
	v_mov_b32_e32 v3, v4
	v_lshlrev_b64 v[2:3], 2, v[2:3]
	v_mov_b32_e32 v1, s41
	v_add_co_u32_e32 v4, vcc, s40, v2
	v_addc_co_u32_e32 v1, vcc, v1, v3, vcc
	v_lshlrev_b64 v[2:3], 2, v[8:9]
	v_add_co_u32_e32 v2, vcc, v4, v2
	v_addc_co_u32_e32 v1, vcc, v1, v3, vcc
	s_lshl_b64 s[4:5], s[0:1], 2
	v_mov_b32_e32 v3, s5
	v_add_co_u32_e32 v2, vcc, s4, v2
	v_addc_co_u32_e32 v3, vcc, v1, v3, vcc
	global_load_dword v1, v[2:3], off
	s_mov_b64 s[4:5], 0
	s_waitcnt vmcnt(0)
	v_fma_f32 v1, s30, v1, v0
	global_store_dword v[2:3], v1, off
.LBB20_18:
	s_andn2_b64 vcc, exec, s[4:5]
	s_cbranch_vccnz .LBB20_20
; %bb.19:
	v_mad_u64_u32 v[2:3], s[4:5], v8, s42, 0
	v_mov_b32_e32 v4, v3
	v_mad_u64_u32 v[4:5], s[4:5], v8, s43, v[4:5]
	v_mov_b32_e32 v3, v4
	v_lshlrev_b64 v[2:3], 2, v[2:3]
	v_mov_b32_e32 v1, s41
	v_add_co_u32_e32 v2, vcc, s40, v2
	v_addc_co_u32_e32 v1, vcc, v1, v3, vcc
	v_lshlrev_b32_e32 v3, 2, v6
	v_add_co_u32_e32 v2, vcc, v2, v3
	v_addc_co_u32_e32 v1, vcc, 0, v1, vcc
	s_lshl_b64 s[4:5], s[0:1], 2
	v_mov_b32_e32 v3, s5
	v_add_co_u32_e32 v2, vcc, s4, v2
	v_addc_co_u32_e32 v3, vcc, v1, v3, vcc
	global_load_dword v1, v[2:3], off
	s_waitcnt vmcnt(0)
	v_fma_f32 v1, s30, v1, v0
	global_store_dword v[2:3], v1, off
.LBB20_20:
	s_cbranch_execz .LBB20_23
.LBB20_21:
	s_endpgm
.LBB20_22:
.LBB20_23:
	s_add_i32 s1, s7, s6
	s_mov_b64 s[4:5], -1
	s_and_b64 vcc, exec, s[2:3]
	s_cbranch_vccz .LBB20_25
; %bb.24:
	v_mad_u64_u32 v[2:3], s[2:3], v6, s42, 0
	v_mov_b32_e32 v4, v3
	v_mad_u64_u32 v[4:5], s[2:3], v6, s43, v[4:5]
	v_mov_b32_e32 v3, v4
	v_lshlrev_b64 v[2:3], 2, v[2:3]
	v_mov_b32_e32 v1, s41
	v_add_co_u32_e32 v4, vcc, s40, v2
	v_addc_co_u32_e32 v1, vcc, v1, v3, vcc
	v_lshlrev_b64 v[2:3], 2, v[8:9]
	v_add_co_u32_e32 v2, vcc, v4, v2
	v_addc_co_u32_e32 v1, vcc, v1, v3, vcc
	s_lshl_b64 s[2:3], s[0:1], 2
	v_mov_b32_e32 v3, s3
	v_add_co_u32_e32 v2, vcc, s2, v2
	v_addc_co_u32_e32 v3, vcc, v1, v3, vcc
	global_store_dword v[2:3], v0, off
	s_mov_b64 s[4:5], 0
.LBB20_25:
	s_andn2_b64 vcc, exec, s[4:5]
	s_cbranch_vccnz .LBB20_21
; %bb.26:
	v_mad_u64_u32 v[2:3], s[2:3], v8, s42, 0
	v_mov_b32_e32 v4, v3
	v_mad_u64_u32 v[4:5], s[2:3], v8, s43, v[4:5]
	v_mov_b32_e32 v3, v4
	v_lshlrev_b64 v[2:3], 2, v[2:3]
	v_mov_b32_e32 v1, s41
	v_add_co_u32_e32 v2, vcc, s40, v2
	v_addc_co_u32_e32 v1, vcc, v1, v3, vcc
	v_lshlrev_b32_e32 v3, 2, v6
	v_add_co_u32_e32 v2, vcc, v2, v3
	v_addc_co_u32_e32 v1, vcc, 0, v1, vcc
	s_lshl_b64 s[0:1], s[0:1], 2
	v_mov_b32_e32 v3, s1
	v_add_co_u32_e32 v2, vcc, s0, v2
	v_addc_co_u32_e32 v3, vcc, v1, v3, vcc
	global_store_dword v[2:3], v0, off
	s_endpgm
	.section	.rodata,"a",@progbits
	.p2align	6, 0x0
	.amdhsa_kernel _ZN9rocsparse31csrmmnn_row_split_shared_kernelILj256ELj8EfllaafEEvNS_24const_host_device_scalarIT1_EES3_bbbT3_S4_llPKT2_PKS4_PKT4_PKT5_llPT6_ll16rocsparse_order_21rocsparse_index_base_
		.amdhsa_group_segment_fixed_size 3072
		.amdhsa_private_segment_fixed_size 0
		.amdhsa_kernarg_size 136
		.amdhsa_user_sgpr_count 6
		.amdhsa_user_sgpr_private_segment_buffer 1
		.amdhsa_user_sgpr_dispatch_ptr 0
		.amdhsa_user_sgpr_queue_ptr 0
		.amdhsa_user_sgpr_kernarg_segment_ptr 1
		.amdhsa_user_sgpr_dispatch_id 0
		.amdhsa_user_sgpr_flat_scratch_init 0
		.amdhsa_user_sgpr_kernarg_preload_length 0
		.amdhsa_user_sgpr_kernarg_preload_offset 0
		.amdhsa_user_sgpr_private_segment_size 0
		.amdhsa_uses_dynamic_stack 0
		.amdhsa_system_sgpr_private_segment_wavefront_offset 0
		.amdhsa_system_sgpr_workgroup_id_x 1
		.amdhsa_system_sgpr_workgroup_id_y 1
		.amdhsa_system_sgpr_workgroup_id_z 1
		.amdhsa_system_sgpr_workgroup_info 0
		.amdhsa_system_vgpr_workitem_id 0
		.amdhsa_next_free_vgpr 42
		.amdhsa_next_free_sgpr 48
		.amdhsa_accum_offset 44
		.amdhsa_reserve_vcc 1
		.amdhsa_reserve_flat_scratch 0
		.amdhsa_float_round_mode_32 0
		.amdhsa_float_round_mode_16_64 0
		.amdhsa_float_denorm_mode_32 3
		.amdhsa_float_denorm_mode_16_64 3
		.amdhsa_dx10_clamp 1
		.amdhsa_ieee_mode 1
		.amdhsa_fp16_overflow 0
		.amdhsa_tg_split 0
		.amdhsa_exception_fp_ieee_invalid_op 0
		.amdhsa_exception_fp_denorm_src 0
		.amdhsa_exception_fp_ieee_div_zero 0
		.amdhsa_exception_fp_ieee_overflow 0
		.amdhsa_exception_fp_ieee_underflow 0
		.amdhsa_exception_fp_ieee_inexact 0
		.amdhsa_exception_int_div_zero 0
	.end_amdhsa_kernel
	.section	.text._ZN9rocsparse31csrmmnn_row_split_shared_kernelILj256ELj8EfllaafEEvNS_24const_host_device_scalarIT1_EES3_bbbT3_S4_llPKT2_PKS4_PKT4_PKT5_llPT6_ll16rocsparse_order_21rocsparse_index_base_,"axG",@progbits,_ZN9rocsparse31csrmmnn_row_split_shared_kernelILj256ELj8EfllaafEEvNS_24const_host_device_scalarIT1_EES3_bbbT3_S4_llPKT2_PKS4_PKT4_PKT5_llPT6_ll16rocsparse_order_21rocsparse_index_base_,comdat
.Lfunc_end20:
	.size	_ZN9rocsparse31csrmmnn_row_split_shared_kernelILj256ELj8EfllaafEEvNS_24const_host_device_scalarIT1_EES3_bbbT3_S4_llPKT2_PKS4_PKT4_PKT5_llPT6_ll16rocsparse_order_21rocsparse_index_base_, .Lfunc_end20-_ZN9rocsparse31csrmmnn_row_split_shared_kernelILj256ELj8EfllaafEEvNS_24const_host_device_scalarIT1_EES3_bbbT3_S4_llPKT2_PKS4_PKT4_PKT5_llPT6_ll16rocsparse_order_21rocsparse_index_base_
                                        ; -- End function
	.section	.AMDGPU.csdata,"",@progbits
; Kernel info:
; codeLenInByte = 1548
; NumSgprs: 52
; NumVgprs: 42
; NumAgprs: 0
; TotalNumVgprs: 42
; ScratchSize: 0
; MemoryBound: 0
; FloatMode: 240
; IeeeMode: 1
; LDSByteSize: 3072 bytes/workgroup (compile time only)
; SGPRBlocks: 6
; VGPRBlocks: 5
; NumSGPRsForWavesPerEU: 52
; NumVGPRsForWavesPerEU: 42
; AccumOffset: 44
; Occupancy: 8
; WaveLimiterHint : 0
; COMPUTE_PGM_RSRC2:SCRATCH_EN: 0
; COMPUTE_PGM_RSRC2:USER_SGPR: 6
; COMPUTE_PGM_RSRC2:TRAP_HANDLER: 0
; COMPUTE_PGM_RSRC2:TGID_X_EN: 1
; COMPUTE_PGM_RSRC2:TGID_Y_EN: 1
; COMPUTE_PGM_RSRC2:TGID_Z_EN: 1
; COMPUTE_PGM_RSRC2:TIDIG_COMP_CNT: 0
; COMPUTE_PGM_RSRC3_GFX90A:ACCUM_OFFSET: 10
; COMPUTE_PGM_RSRC3_GFX90A:TG_SPLIT: 0
	.text
	.p2alignl 6, 3212836864
	.fill 256, 4, 3212836864
	.type	__hip_cuid_834d25d6bc81f09e,@object ; @__hip_cuid_834d25d6bc81f09e
	.section	.bss,"aw",@nobits
	.globl	__hip_cuid_834d25d6bc81f09e
__hip_cuid_834d25d6bc81f09e:
	.byte	0                               ; 0x0
	.size	__hip_cuid_834d25d6bc81f09e, 1

	.ident	"AMD clang version 19.0.0git (https://github.com/RadeonOpenCompute/llvm-project roc-6.4.0 25133 c7fe45cf4b819c5991fe208aaa96edf142730f1d)"
	.section	".note.GNU-stack","",@progbits
	.addrsig
	.addrsig_sym __hip_cuid_834d25d6bc81f09e
	.amdgpu_metadata
---
amdhsa.kernels:
  - .agpr_count:     0
    .args:
      - .offset:         0
        .size:           8
        .value_kind:     by_value
      - .offset:         8
        .size:           8
        .value_kind:     by_value
      - .offset:         16
        .size:           1
        .value_kind:     by_value
      - .offset:         17
        .size:           1
        .value_kind:     by_value
      - .offset:         18
        .size:           1
        .value_kind:     by_value
      - .offset:         20
        .size:           4
        .value_kind:     by_value
      - .offset:         24
        .size:           4
        .value_kind:     by_value
      - .offset:         32
        .size:           8
        .value_kind:     by_value
      - .offset:         40
        .size:           8
        .value_kind:     by_value
      - .address_space:  global
        .offset:         48
        .size:           8
        .value_kind:     global_buffer
      - .address_space:  global
        .offset:         56
        .size:           8
        .value_kind:     global_buffer
      - .address_space:  global
        .offset:         64
        .size:           8
        .value_kind:     global_buffer
      - .address_space:  global
        .offset:         72
        .size:           8
        .value_kind:     global_buffer
      - .offset:         80
        .size:           8
        .value_kind:     by_value
      - .offset:         88
        .size:           8
        .value_kind:     by_value
      - .address_space:  global
        .offset:         96
        .size:           8
        .value_kind:     global_buffer
      - .offset:         104
        .size:           8
        .value_kind:     by_value
      - .offset:         112
        .size:           8
        .value_kind:     by_value
      - .offset:         120
        .size:           4
        .value_kind:     by_value
      - .offset:         124
        .size:           4
        .value_kind:     by_value
    .group_segment_fixed_size: 2048
    .kernarg_segment_align: 8
    .kernarg_segment_size: 128
    .language:       OpenCL C
    .language_version:
      - 2
      - 0
    .max_flat_workgroup_size: 256
    .name:           _ZN9rocsparse31csrmmnn_row_split_shared_kernelILj256ELj8EfiifffEEvNS_24const_host_device_scalarIT1_EES3_bbbT3_S4_llPKT2_PKS4_PKT4_PKT5_llPT6_ll16rocsparse_order_21rocsparse_index_base_
    .private_segment_fixed_size: 0
    .sgpr_count:     48
    .sgpr_spill_count: 0
    .symbol:         _ZN9rocsparse31csrmmnn_row_split_shared_kernelILj256ELj8EfiifffEEvNS_24const_host_device_scalarIT1_EES3_bbbT3_S4_llPKT2_PKS4_PKT4_PKT5_llPT6_ll16rocsparse_order_21rocsparse_index_base_.kd
    .uniform_work_group_size: 1
    .uses_dynamic_stack: false
    .vgpr_count:     38
    .vgpr_spill_count: 0
    .wavefront_size: 64
  - .agpr_count:     0
    .args:
      - .offset:         0
        .size:           8
        .value_kind:     by_value
      - .offset:         8
        .size:           8
        .value_kind:     by_value
      - .offset:         16
        .size:           1
        .value_kind:     by_value
      - .offset:         17
        .size:           1
        .value_kind:     by_value
      - .offset:         18
        .size:           1
        .value_kind:     by_value
      - .offset:         20
        .size:           4
        .value_kind:     by_value
      - .offset:         24
        .size:           4
        .value_kind:     by_value
      - .offset:         32
        .size:           8
        .value_kind:     by_value
      - .offset:         40
        .size:           8
        .value_kind:     by_value
      - .address_space:  global
        .offset:         48
        .size:           8
        .value_kind:     global_buffer
      - .address_space:  global
        .offset:         56
        .size:           8
        .value_kind:     global_buffer
      - .address_space:  global
        .offset:         64
        .size:           8
        .value_kind:     global_buffer
      - .address_space:  global
        .offset:         72
        .size:           8
        .value_kind:     global_buffer
      - .offset:         80
        .size:           8
        .value_kind:     by_value
      - .offset:         88
        .size:           8
        .value_kind:     by_value
      - .address_space:  global
        .offset:         96
        .size:           8
        .value_kind:     global_buffer
      - .offset:         104
        .size:           8
        .value_kind:     by_value
      - .offset:         112
        .size:           8
        .value_kind:     by_value
      - .offset:         120
        .size:           4
        .value_kind:     by_value
      - .offset:         124
        .size:           4
        .value_kind:     by_value
    .group_segment_fixed_size: 2048
    .kernarg_segment_align: 8
    .kernarg_segment_size: 128
    .language:       OpenCL C
    .language_version:
      - 2
      - 0
    .max_flat_workgroup_size: 256
    .name:           _ZN9rocsparse31csrmmnn_row_split_shared_kernelILj256ELj8EflifffEEvNS_24const_host_device_scalarIT1_EES3_bbbT3_S4_llPKT2_PKS4_PKT4_PKT5_llPT6_ll16rocsparse_order_21rocsparse_index_base_
    .private_segment_fixed_size: 0
    .sgpr_count:     48
    .sgpr_spill_count: 0
    .symbol:         _ZN9rocsparse31csrmmnn_row_split_shared_kernelILj256ELj8EflifffEEvNS_24const_host_device_scalarIT1_EES3_bbbT3_S4_llPKT2_PKS4_PKT4_PKT5_llPT6_ll16rocsparse_order_21rocsparse_index_base_.kd
    .uniform_work_group_size: 1
    .uses_dynamic_stack: false
    .vgpr_count:     43
    .vgpr_spill_count: 0
    .wavefront_size: 64
  - .agpr_count:     0
    .args:
      - .offset:         0
        .size:           8
        .value_kind:     by_value
      - .offset:         8
        .size:           8
        .value_kind:     by_value
      - .offset:         16
        .size:           1
        .value_kind:     by_value
      - .offset:         17
        .size:           1
        .value_kind:     by_value
      - .offset:         18
        .size:           1
        .value_kind:     by_value
      - .offset:         24
        .size:           8
        .value_kind:     by_value
      - .offset:         32
        .size:           8
        .value_kind:     by_value
      - .offset:         40
        .size:           8
        .value_kind:     by_value
      - .offset:         48
        .size:           8
        .value_kind:     by_value
      - .address_space:  global
        .offset:         56
        .size:           8
        .value_kind:     global_buffer
      - .address_space:  global
        .offset:         64
        .size:           8
        .value_kind:     global_buffer
      - .address_space:  global
        .offset:         72
        .size:           8
        .value_kind:     global_buffer
      - .address_space:  global
        .offset:         80
        .size:           8
        .value_kind:     global_buffer
      - .offset:         88
        .size:           8
        .value_kind:     by_value
      - .offset:         96
        .size:           8
        .value_kind:     by_value
      - .address_space:  global
        .offset:         104
        .size:           8
        .value_kind:     global_buffer
      - .offset:         112
        .size:           8
        .value_kind:     by_value
      - .offset:         120
        .size:           8
        .value_kind:     by_value
      - .offset:         128
        .size:           4
        .value_kind:     by_value
      - .offset:         132
        .size:           4
        .value_kind:     by_value
    .group_segment_fixed_size: 3072
    .kernarg_segment_align: 8
    .kernarg_segment_size: 136
    .language:       OpenCL C
    .language_version:
      - 2
      - 0
    .max_flat_workgroup_size: 256
    .name:           _ZN9rocsparse31csrmmnn_row_split_shared_kernelILj256ELj8EfllfffEEvNS_24const_host_device_scalarIT1_EES3_bbbT3_S4_llPKT2_PKS4_PKT4_PKT5_llPT6_ll16rocsparse_order_21rocsparse_index_base_
    .private_segment_fixed_size: 0
    .sgpr_count:     52
    .sgpr_spill_count: 0
    .symbol:         _ZN9rocsparse31csrmmnn_row_split_shared_kernelILj256ELj8EfllfffEEvNS_24const_host_device_scalarIT1_EES3_bbbT3_S4_llPKT2_PKS4_PKT4_PKT5_llPT6_ll16rocsparse_order_21rocsparse_index_base_.kd
    .uniform_work_group_size: 1
    .uses_dynamic_stack: false
    .vgpr_count:     43
    .vgpr_spill_count: 0
    .wavefront_size: 64
  - .agpr_count:     0
    .args:
      - .offset:         0
        .size:           8
        .value_kind:     by_value
      - .offset:         8
        .size:           8
        .value_kind:     by_value
      - .offset:         16
        .size:           1
        .value_kind:     by_value
      - .offset:         17
        .size:           1
        .value_kind:     by_value
      - .offset:         18
        .size:           1
        .value_kind:     by_value
      - .offset:         20
        .size:           4
        .value_kind:     by_value
      - .offset:         24
        .size:           4
        .value_kind:     by_value
      - .offset:         32
        .size:           8
        .value_kind:     by_value
      - .offset:         40
        .size:           8
        .value_kind:     by_value
      - .address_space:  global
        .offset:         48
        .size:           8
        .value_kind:     global_buffer
      - .address_space:  global
        .offset:         56
        .size:           8
        .value_kind:     global_buffer
      - .address_space:  global
        .offset:         64
        .size:           8
        .value_kind:     global_buffer
      - .address_space:  global
        .offset:         72
        .size:           8
        .value_kind:     global_buffer
      - .offset:         80
        .size:           8
        .value_kind:     by_value
      - .offset:         88
        .size:           8
        .value_kind:     by_value
      - .address_space:  global
        .offset:         96
        .size:           8
        .value_kind:     global_buffer
      - .offset:         104
        .size:           8
        .value_kind:     by_value
      - .offset:         112
        .size:           8
        .value_kind:     by_value
      - .offset:         120
        .size:           4
        .value_kind:     by_value
      - .offset:         124
        .size:           4
        .value_kind:     by_value
    .group_segment_fixed_size: 3072
    .kernarg_segment_align: 8
    .kernarg_segment_size: 128
    .language:       OpenCL C
    .language_version:
      - 2
      - 0
    .max_flat_workgroup_size: 256
    .name:           _ZN9rocsparse31csrmmnn_row_split_shared_kernelILj256ELj8EdiidddEEvNS_24const_host_device_scalarIT1_EES3_bbbT3_S4_llPKT2_PKS4_PKT4_PKT5_llPT6_ll16rocsparse_order_21rocsparse_index_base_
    .private_segment_fixed_size: 0
    .sgpr_count:     36
    .sgpr_spill_count: 0
    .symbol:         _ZN9rocsparse31csrmmnn_row_split_shared_kernelILj256ELj8EdiidddEEvNS_24const_host_device_scalarIT1_EES3_bbbT3_S4_llPKT2_PKS4_PKT4_PKT5_llPT6_ll16rocsparse_order_21rocsparse_index_base_.kd
    .uniform_work_group_size: 1
    .uses_dynamic_stack: false
    .vgpr_count:     54
    .vgpr_spill_count: 0
    .wavefront_size: 64
  - .agpr_count:     0
    .args:
      - .offset:         0
        .size:           8
        .value_kind:     by_value
      - .offset:         8
        .size:           8
        .value_kind:     by_value
      - .offset:         16
        .size:           1
        .value_kind:     by_value
      - .offset:         17
        .size:           1
        .value_kind:     by_value
      - .offset:         18
        .size:           1
        .value_kind:     by_value
      - .offset:         20
        .size:           4
        .value_kind:     by_value
      - .offset:         24
        .size:           4
        .value_kind:     by_value
      - .offset:         32
        .size:           8
        .value_kind:     by_value
      - .offset:         40
        .size:           8
        .value_kind:     by_value
      - .address_space:  global
        .offset:         48
        .size:           8
        .value_kind:     global_buffer
      - .address_space:  global
        .offset:         56
        .size:           8
        .value_kind:     global_buffer
      - .address_space:  global
        .offset:         64
        .size:           8
        .value_kind:     global_buffer
      - .address_space:  global
        .offset:         72
        .size:           8
        .value_kind:     global_buffer
      - .offset:         80
        .size:           8
        .value_kind:     by_value
      - .offset:         88
        .size:           8
        .value_kind:     by_value
      - .address_space:  global
        .offset:         96
        .size:           8
        .value_kind:     global_buffer
      - .offset:         104
        .size:           8
        .value_kind:     by_value
      - .offset:         112
        .size:           8
        .value_kind:     by_value
      - .offset:         120
        .size:           4
        .value_kind:     by_value
      - .offset:         124
        .size:           4
        .value_kind:     by_value
    .group_segment_fixed_size: 3072
    .kernarg_segment_align: 8
    .kernarg_segment_size: 128
    .language:       OpenCL C
    .language_version:
      - 2
      - 0
    .max_flat_workgroup_size: 256
    .name:           _ZN9rocsparse31csrmmnn_row_split_shared_kernelILj256ELj8EdlidddEEvNS_24const_host_device_scalarIT1_EES3_bbbT3_S4_llPKT2_PKS4_PKT4_PKT5_llPT6_ll16rocsparse_order_21rocsparse_index_base_
    .private_segment_fixed_size: 0
    .sgpr_count:     36
    .sgpr_spill_count: 0
    .symbol:         _ZN9rocsparse31csrmmnn_row_split_shared_kernelILj256ELj8EdlidddEEvNS_24const_host_device_scalarIT1_EES3_bbbT3_S4_llPKT2_PKS4_PKT4_PKT5_llPT6_ll16rocsparse_order_21rocsparse_index_base_.kd
    .uniform_work_group_size: 1
    .uses_dynamic_stack: false
    .vgpr_count:     62
    .vgpr_spill_count: 0
    .wavefront_size: 64
  - .agpr_count:     0
    .args:
      - .offset:         0
        .size:           8
        .value_kind:     by_value
      - .offset:         8
        .size:           8
        .value_kind:     by_value
      - .offset:         16
        .size:           1
        .value_kind:     by_value
      - .offset:         17
        .size:           1
        .value_kind:     by_value
      - .offset:         18
        .size:           1
        .value_kind:     by_value
      - .offset:         24
        .size:           8
        .value_kind:     by_value
      - .offset:         32
        .size:           8
        .value_kind:     by_value
      - .offset:         40
        .size:           8
        .value_kind:     by_value
      - .offset:         48
        .size:           8
        .value_kind:     by_value
      - .address_space:  global
        .offset:         56
        .size:           8
        .value_kind:     global_buffer
      - .address_space:  global
        .offset:         64
        .size:           8
        .value_kind:     global_buffer
      - .address_space:  global
        .offset:         72
        .size:           8
        .value_kind:     global_buffer
      - .address_space:  global
        .offset:         80
        .size:           8
        .value_kind:     global_buffer
      - .offset:         88
        .size:           8
        .value_kind:     by_value
      - .offset:         96
        .size:           8
        .value_kind:     by_value
      - .address_space:  global
        .offset:         104
        .size:           8
        .value_kind:     global_buffer
      - .offset:         112
        .size:           8
        .value_kind:     by_value
      - .offset:         120
        .size:           8
        .value_kind:     by_value
      - .offset:         128
        .size:           4
        .value_kind:     by_value
      - .offset:         132
        .size:           4
        .value_kind:     by_value
    .group_segment_fixed_size: 4096
    .kernarg_segment_align: 8
    .kernarg_segment_size: 136
    .language:       OpenCL C
    .language_version:
      - 2
      - 0
    .max_flat_workgroup_size: 256
    .name:           _ZN9rocsparse31csrmmnn_row_split_shared_kernelILj256ELj8EdlldddEEvNS_24const_host_device_scalarIT1_EES3_bbbT3_S4_llPKT2_PKS4_PKT4_PKT5_llPT6_ll16rocsparse_order_21rocsparse_index_base_
    .private_segment_fixed_size: 0
    .sgpr_count:     48
    .sgpr_spill_count: 0
    .symbol:         _ZN9rocsparse31csrmmnn_row_split_shared_kernelILj256ELj8EdlldddEEvNS_24const_host_device_scalarIT1_EES3_bbbT3_S4_llPKT2_PKS4_PKT4_PKT5_llPT6_ll16rocsparse_order_21rocsparse_index_base_.kd
    .uniform_work_group_size: 1
    .uses_dynamic_stack: false
    .vgpr_count:     60
    .vgpr_spill_count: 0
    .wavefront_size: 64
  - .agpr_count:     0
    .args:
      - .offset:         0
        .size:           8
        .value_kind:     by_value
      - .offset:         8
        .size:           8
        .value_kind:     by_value
      - .offset:         16
        .size:           1
        .value_kind:     by_value
      - .offset:         17
        .size:           1
        .value_kind:     by_value
      - .offset:         18
        .size:           1
        .value_kind:     by_value
      - .offset:         20
        .size:           4
        .value_kind:     by_value
      - .offset:         24
        .size:           4
        .value_kind:     by_value
      - .offset:         32
        .size:           8
        .value_kind:     by_value
      - .offset:         40
        .size:           8
        .value_kind:     by_value
      - .address_space:  global
        .offset:         48
        .size:           8
        .value_kind:     global_buffer
      - .address_space:  global
        .offset:         56
        .size:           8
        .value_kind:     global_buffer
      - .address_space:  global
        .offset:         64
        .size:           8
        .value_kind:     global_buffer
      - .address_space:  global
        .offset:         72
        .size:           8
        .value_kind:     global_buffer
      - .offset:         80
        .size:           8
        .value_kind:     by_value
      - .offset:         88
        .size:           8
        .value_kind:     by_value
      - .address_space:  global
        .offset:         96
        .size:           8
        .value_kind:     global_buffer
      - .offset:         104
        .size:           8
        .value_kind:     by_value
      - .offset:         112
        .size:           8
        .value_kind:     by_value
      - .offset:         120
        .size:           4
        .value_kind:     by_value
      - .offset:         124
        .size:           4
        .value_kind:     by_value
    .group_segment_fixed_size: 3072
    .kernarg_segment_align: 8
    .kernarg_segment_size: 128
    .language:       OpenCL C
    .language_version:
      - 2
      - 0
    .max_flat_workgroup_size: 256
    .name:           _ZN9rocsparse31csrmmnn_row_split_shared_kernelILj256ELj8E21rocsparse_complex_numIfEiiS2_S2_S2_EEvNS_24const_host_device_scalarIT1_EES5_bbbT3_S6_llPKT2_PKS6_PKT4_PKT5_llPT6_ll16rocsparse_order_21rocsparse_index_base_
    .private_segment_fixed_size: 0
    .sgpr_count:     38
    .sgpr_spill_count: 0
    .symbol:         _ZN9rocsparse31csrmmnn_row_split_shared_kernelILj256ELj8E21rocsparse_complex_numIfEiiS2_S2_S2_EEvNS_24const_host_device_scalarIT1_EES5_bbbT3_S6_llPKT2_PKS6_PKT4_PKT5_llPT6_ll16rocsparse_order_21rocsparse_index_base_.kd
    .uniform_work_group_size: 1
    .uses_dynamic_stack: false
    .vgpr_count:     64
    .vgpr_spill_count: 0
    .wavefront_size: 64
  - .agpr_count:     0
    .args:
      - .offset:         0
        .size:           8
        .value_kind:     by_value
      - .offset:         8
        .size:           8
        .value_kind:     by_value
      - .offset:         16
        .size:           1
        .value_kind:     by_value
      - .offset:         17
        .size:           1
        .value_kind:     by_value
      - .offset:         18
        .size:           1
        .value_kind:     by_value
      - .offset:         20
        .size:           4
        .value_kind:     by_value
      - .offset:         24
        .size:           4
        .value_kind:     by_value
      - .offset:         32
        .size:           8
        .value_kind:     by_value
      - .offset:         40
        .size:           8
        .value_kind:     by_value
      - .address_space:  global
        .offset:         48
        .size:           8
        .value_kind:     global_buffer
      - .address_space:  global
        .offset:         56
        .size:           8
        .value_kind:     global_buffer
      - .address_space:  global
        .offset:         64
        .size:           8
        .value_kind:     global_buffer
      - .address_space:  global
        .offset:         72
        .size:           8
        .value_kind:     global_buffer
      - .offset:         80
        .size:           8
        .value_kind:     by_value
      - .offset:         88
        .size:           8
        .value_kind:     by_value
      - .address_space:  global
        .offset:         96
        .size:           8
        .value_kind:     global_buffer
      - .offset:         104
        .size:           8
        .value_kind:     by_value
      - .offset:         112
        .size:           8
        .value_kind:     by_value
      - .offset:         120
        .size:           4
        .value_kind:     by_value
      - .offset:         124
        .size:           4
        .value_kind:     by_value
    .group_segment_fixed_size: 3072
    .kernarg_segment_align: 8
    .kernarg_segment_size: 128
    .language:       OpenCL C
    .language_version:
      - 2
      - 0
    .max_flat_workgroup_size: 256
    .name:           _ZN9rocsparse31csrmmnn_row_split_shared_kernelILj256ELj8E21rocsparse_complex_numIfEliS2_S2_S2_EEvNS_24const_host_device_scalarIT1_EES5_bbbT3_S6_llPKT2_PKS6_PKT4_PKT5_llPT6_ll16rocsparse_order_21rocsparse_index_base_
    .private_segment_fixed_size: 0
    .sgpr_count:     38
    .sgpr_spill_count: 0
    .symbol:         _ZN9rocsparse31csrmmnn_row_split_shared_kernelILj256ELj8E21rocsparse_complex_numIfEliS2_S2_S2_EEvNS_24const_host_device_scalarIT1_EES5_bbbT3_S6_llPKT2_PKS6_PKT4_PKT5_llPT6_ll16rocsparse_order_21rocsparse_index_base_.kd
    .uniform_work_group_size: 1
    .uses_dynamic_stack: false
    .vgpr_count:     80
    .vgpr_spill_count: 0
    .wavefront_size: 64
  - .agpr_count:     0
    .args:
      - .offset:         0
        .size:           8
        .value_kind:     by_value
      - .offset:         8
        .size:           8
        .value_kind:     by_value
      - .offset:         16
        .size:           1
        .value_kind:     by_value
      - .offset:         17
        .size:           1
        .value_kind:     by_value
      - .offset:         18
        .size:           1
        .value_kind:     by_value
      - .offset:         24
        .size:           8
        .value_kind:     by_value
      - .offset:         32
        .size:           8
        .value_kind:     by_value
      - .offset:         40
        .size:           8
        .value_kind:     by_value
      - .offset:         48
        .size:           8
        .value_kind:     by_value
      - .address_space:  global
        .offset:         56
        .size:           8
        .value_kind:     global_buffer
      - .address_space:  global
        .offset:         64
        .size:           8
        .value_kind:     global_buffer
      - .address_space:  global
        .offset:         72
        .size:           8
        .value_kind:     global_buffer
      - .address_space:  global
        .offset:         80
        .size:           8
        .value_kind:     global_buffer
      - .offset:         88
        .size:           8
        .value_kind:     by_value
      - .offset:         96
        .size:           8
        .value_kind:     by_value
      - .address_space:  global
        .offset:         104
        .size:           8
        .value_kind:     global_buffer
      - .offset:         112
        .size:           8
        .value_kind:     by_value
      - .offset:         120
        .size:           8
        .value_kind:     by_value
      - .offset:         128
        .size:           4
        .value_kind:     by_value
      - .offset:         132
        .size:           4
        .value_kind:     by_value
    .group_segment_fixed_size: 4096
    .kernarg_segment_align: 8
    .kernarg_segment_size: 136
    .language:       OpenCL C
    .language_version:
      - 2
      - 0
    .max_flat_workgroup_size: 256
    .name:           _ZN9rocsparse31csrmmnn_row_split_shared_kernelILj256ELj8E21rocsparse_complex_numIfEllS2_S2_S2_EEvNS_24const_host_device_scalarIT1_EES5_bbbT3_S6_llPKT2_PKS6_PKT4_PKT5_llPT6_ll16rocsparse_order_21rocsparse_index_base_
    .private_segment_fixed_size: 0
    .sgpr_count:     48
    .sgpr_spill_count: 0
    .symbol:         _ZN9rocsparse31csrmmnn_row_split_shared_kernelILj256ELj8E21rocsparse_complex_numIfEllS2_S2_S2_EEvNS_24const_host_device_scalarIT1_EES5_bbbT3_S6_llPKT2_PKS6_PKT4_PKT5_llPT6_ll16rocsparse_order_21rocsparse_index_base_.kd
    .uniform_work_group_size: 1
    .uses_dynamic_stack: false
    .vgpr_count:     64
    .vgpr_spill_count: 0
    .wavefront_size: 64
  - .agpr_count:     0
    .args:
      - .offset:         0
        .size:           16
        .value_kind:     by_value
      - .offset:         16
        .size:           16
        .value_kind:     by_value
      - .offset:         32
        .size:           1
        .value_kind:     by_value
      - .offset:         33
        .size:           1
        .value_kind:     by_value
      - .offset:         34
        .size:           1
        .value_kind:     by_value
      - .offset:         36
        .size:           4
        .value_kind:     by_value
      - .offset:         40
        .size:           4
        .value_kind:     by_value
      - .offset:         48
        .size:           8
        .value_kind:     by_value
      - .offset:         56
        .size:           8
        .value_kind:     by_value
      - .address_space:  global
        .offset:         64
        .size:           8
        .value_kind:     global_buffer
      - .address_space:  global
        .offset:         72
        .size:           8
        .value_kind:     global_buffer
      - .address_space:  global
        .offset:         80
        .size:           8
        .value_kind:     global_buffer
      - .address_space:  global
        .offset:         88
        .size:           8
        .value_kind:     global_buffer
      - .offset:         96
        .size:           8
        .value_kind:     by_value
      - .offset:         104
        .size:           8
        .value_kind:     by_value
      - .address_space:  global
        .offset:         112
        .size:           8
        .value_kind:     global_buffer
      - .offset:         120
        .size:           8
        .value_kind:     by_value
      - .offset:         128
        .size:           8
        .value_kind:     by_value
      - .offset:         136
        .size:           4
        .value_kind:     by_value
      - .offset:         140
        .size:           4
        .value_kind:     by_value
    .group_segment_fixed_size: 7168
    .kernarg_segment_align: 8
    .kernarg_segment_size: 144
    .language:       OpenCL C
    .language_version:
      - 2
      - 0
    .max_flat_workgroup_size: 256
    .name:           _ZN9rocsparse31csrmmnn_row_split_shared_kernelILj256ELj8E21rocsparse_complex_numIdEiiS2_S2_S2_EEvNS_24const_host_device_scalarIT1_EES5_bbbT3_S6_llPKT2_PKS6_PKT4_PKT5_llPT6_ll16rocsparse_order_21rocsparse_index_base_
    .private_segment_fixed_size: 16
    .sgpr_count:     46
    .sgpr_spill_count: 0
    .symbol:         _ZN9rocsparse31csrmmnn_row_split_shared_kernelILj256ELj8E21rocsparse_complex_numIdEiiS2_S2_S2_EEvNS_24const_host_device_scalarIT1_EES5_bbbT3_S6_llPKT2_PKS6_PKT4_PKT5_llPT6_ll16rocsparse_order_21rocsparse_index_base_.kd
    .uniform_work_group_size: 1
    .uses_dynamic_stack: false
    .vgpr_count:     86
    .vgpr_spill_count: 0
    .wavefront_size: 64
  - .agpr_count:     0
    .args:
      - .offset:         0
        .size:           16
        .value_kind:     by_value
      - .offset:         16
        .size:           16
        .value_kind:     by_value
      - .offset:         32
        .size:           1
        .value_kind:     by_value
      - .offset:         33
        .size:           1
        .value_kind:     by_value
      - .offset:         34
        .size:           1
        .value_kind:     by_value
      - .offset:         36
        .size:           4
        .value_kind:     by_value
      - .offset:         40
        .size:           4
        .value_kind:     by_value
      - .offset:         48
        .size:           8
        .value_kind:     by_value
      - .offset:         56
        .size:           8
        .value_kind:     by_value
      - .address_space:  global
        .offset:         64
        .size:           8
        .value_kind:     global_buffer
      - .address_space:  global
        .offset:         72
        .size:           8
        .value_kind:     global_buffer
      - .address_space:  global
        .offset:         80
        .size:           8
        .value_kind:     global_buffer
      - .address_space:  global
        .offset:         88
        .size:           8
        .value_kind:     global_buffer
      - .offset:         96
        .size:           8
        .value_kind:     by_value
      - .offset:         104
        .size:           8
        .value_kind:     by_value
      - .address_space:  global
        .offset:         112
        .size:           8
        .value_kind:     global_buffer
      - .offset:         120
        .size:           8
        .value_kind:     by_value
      - .offset:         128
        .size:           8
        .value_kind:     by_value
      - .offset:         136
        .size:           4
        .value_kind:     by_value
      - .offset:         140
        .size:           4
        .value_kind:     by_value
    .group_segment_fixed_size: 7168
    .kernarg_segment_align: 8
    .kernarg_segment_size: 144
    .language:       OpenCL C
    .language_version:
      - 2
      - 0
    .max_flat_workgroup_size: 256
    .name:           _ZN9rocsparse31csrmmnn_row_split_shared_kernelILj256ELj8E21rocsparse_complex_numIdEliS2_S2_S2_EEvNS_24const_host_device_scalarIT1_EES5_bbbT3_S6_llPKT2_PKS6_PKT4_PKT5_llPT6_ll16rocsparse_order_21rocsparse_index_base_
    .private_segment_fixed_size: 16
    .sgpr_count:     46
    .sgpr_spill_count: 0
    .symbol:         _ZN9rocsparse31csrmmnn_row_split_shared_kernelILj256ELj8E21rocsparse_complex_numIdEliS2_S2_S2_EEvNS_24const_host_device_scalarIT1_EES5_bbbT3_S6_llPKT2_PKS6_PKT4_PKT5_llPT6_ll16rocsparse_order_21rocsparse_index_base_.kd
    .uniform_work_group_size: 1
    .uses_dynamic_stack: false
    .vgpr_count:     92
    .vgpr_spill_count: 0
    .wavefront_size: 64
  - .agpr_count:     0
    .args:
      - .offset:         0
        .size:           16
        .value_kind:     by_value
      - .offset:         16
        .size:           16
        .value_kind:     by_value
      - .offset:         32
        .size:           1
        .value_kind:     by_value
      - .offset:         33
        .size:           1
        .value_kind:     by_value
      - .offset:         34
        .size:           1
        .value_kind:     by_value
      - .offset:         40
        .size:           8
        .value_kind:     by_value
      - .offset:         48
        .size:           8
        .value_kind:     by_value
      - .offset:         56
        .size:           8
        .value_kind:     by_value
      - .offset:         64
        .size:           8
        .value_kind:     by_value
      - .address_space:  global
        .offset:         72
        .size:           8
        .value_kind:     global_buffer
      - .address_space:  global
        .offset:         80
        .size:           8
        .value_kind:     global_buffer
      - .address_space:  global
        .offset:         88
        .size:           8
        .value_kind:     global_buffer
      - .address_space:  global
        .offset:         96
        .size:           8
        .value_kind:     global_buffer
      - .offset:         104
        .size:           8
        .value_kind:     by_value
      - .offset:         112
        .size:           8
        .value_kind:     by_value
      - .address_space:  global
        .offset:         120
        .size:           8
        .value_kind:     global_buffer
      - .offset:         128
        .size:           8
        .value_kind:     by_value
      - .offset:         136
        .size:           8
        .value_kind:     by_value
      - .offset:         144
        .size:           4
        .value_kind:     by_value
      - .offset:         148
        .size:           4
        .value_kind:     by_value
    .group_segment_fixed_size: 8192
    .kernarg_segment_align: 8
    .kernarg_segment_size: 152
    .language:       OpenCL C
    .language_version:
      - 2
      - 0
    .max_flat_workgroup_size: 256
    .name:           _ZN9rocsparse31csrmmnn_row_split_shared_kernelILj256ELj8E21rocsparse_complex_numIdEllS2_S2_S2_EEvNS_24const_host_device_scalarIT1_EES5_bbbT3_S6_llPKT2_PKS6_PKT4_PKT5_llPT6_ll16rocsparse_order_21rocsparse_index_base_
    .private_segment_fixed_size: 16
    .sgpr_count:     54
    .sgpr_spill_count: 0
    .symbol:         _ZN9rocsparse31csrmmnn_row_split_shared_kernelILj256ELj8E21rocsparse_complex_numIdEllS2_S2_S2_EEvNS_24const_host_device_scalarIT1_EES5_bbbT3_S6_llPKT2_PKS6_PKT4_PKT5_llPT6_ll16rocsparse_order_21rocsparse_index_base_.kd
    .uniform_work_group_size: 1
    .uses_dynamic_stack: false
    .vgpr_count:     103
    .vgpr_spill_count: 0
    .wavefront_size: 64
  - .agpr_count:     0
    .args:
      - .offset:         0
        .size:           8
        .value_kind:     by_value
      - .offset:         8
        .size:           8
        .value_kind:     by_value
      - .offset:         16
        .size:           1
        .value_kind:     by_value
      - .offset:         17
        .size:           1
        .value_kind:     by_value
      - .offset:         18
        .size:           1
        .value_kind:     by_value
      - .offset:         20
        .size:           4
        .value_kind:     by_value
      - .offset:         24
        .size:           4
        .value_kind:     by_value
      - .offset:         32
        .size:           8
        .value_kind:     by_value
      - .offset:         40
        .size:           8
        .value_kind:     by_value
      - .address_space:  global
        .offset:         48
        .size:           8
        .value_kind:     global_buffer
      - .address_space:  global
        .offset:         56
        .size:           8
        .value_kind:     global_buffer
      - .address_space:  global
        .offset:         64
        .size:           8
        .value_kind:     global_buffer
      - .address_space:  global
        .offset:         72
        .size:           8
        .value_kind:     global_buffer
      - .offset:         80
        .size:           8
        .value_kind:     by_value
      - .offset:         88
        .size:           8
        .value_kind:     by_value
      - .address_space:  global
        .offset:         96
        .size:           8
        .value_kind:     global_buffer
      - .offset:         104
        .size:           8
        .value_kind:     by_value
      - .offset:         112
        .size:           8
        .value_kind:     by_value
      - .offset:         120
        .size:           4
        .value_kind:     by_value
      - .offset:         124
        .size:           4
        .value_kind:     by_value
    .group_segment_fixed_size: 2048
    .kernarg_segment_align: 8
    .kernarg_segment_size: 128
    .language:       OpenCL C
    .language_version:
      - 2
      - 0
    .max_flat_workgroup_size: 256
    .name:           _ZN9rocsparse31csrmmnn_row_split_shared_kernelILj256ELj8EfiiDF16_DF16_fEEvNS_24const_host_device_scalarIT1_EES3_bbbT3_S4_llPKT2_PKS4_PKT4_PKT5_llPT6_ll16rocsparse_order_21rocsparse_index_base_
    .private_segment_fixed_size: 0
    .sgpr_count:     48
    .sgpr_spill_count: 0
    .symbol:         _ZN9rocsparse31csrmmnn_row_split_shared_kernelILj256ELj8EfiiDF16_DF16_fEEvNS_24const_host_device_scalarIT1_EES3_bbbT3_S4_llPKT2_PKS4_PKT4_PKT5_llPT6_ll16rocsparse_order_21rocsparse_index_base_.kd
    .uniform_work_group_size: 1
    .uses_dynamic_stack: false
    .vgpr_count:     38
    .vgpr_spill_count: 0
    .wavefront_size: 64
  - .agpr_count:     0
    .args:
      - .offset:         0
        .size:           8
        .value_kind:     by_value
      - .offset:         8
        .size:           8
        .value_kind:     by_value
      - .offset:         16
        .size:           1
        .value_kind:     by_value
      - .offset:         17
        .size:           1
        .value_kind:     by_value
      - .offset:         18
        .size:           1
        .value_kind:     by_value
      - .offset:         20
        .size:           4
        .value_kind:     by_value
      - .offset:         24
        .size:           4
        .value_kind:     by_value
      - .offset:         32
        .size:           8
        .value_kind:     by_value
      - .offset:         40
        .size:           8
        .value_kind:     by_value
      - .address_space:  global
        .offset:         48
        .size:           8
        .value_kind:     global_buffer
      - .address_space:  global
        .offset:         56
        .size:           8
        .value_kind:     global_buffer
      - .address_space:  global
        .offset:         64
        .size:           8
        .value_kind:     global_buffer
      - .address_space:  global
        .offset:         72
        .size:           8
        .value_kind:     global_buffer
      - .offset:         80
        .size:           8
        .value_kind:     by_value
      - .offset:         88
        .size:           8
        .value_kind:     by_value
      - .address_space:  global
        .offset:         96
        .size:           8
        .value_kind:     global_buffer
      - .offset:         104
        .size:           8
        .value_kind:     by_value
      - .offset:         112
        .size:           8
        .value_kind:     by_value
      - .offset:         120
        .size:           4
        .value_kind:     by_value
      - .offset:         124
        .size:           4
        .value_kind:     by_value
    .group_segment_fixed_size: 2048
    .kernarg_segment_align: 8
    .kernarg_segment_size: 128
    .language:       OpenCL C
    .language_version:
      - 2
      - 0
    .max_flat_workgroup_size: 256
    .name:           _ZN9rocsparse31csrmmnn_row_split_shared_kernelILj256ELj8EfliDF16_DF16_fEEvNS_24const_host_device_scalarIT1_EES3_bbbT3_S4_llPKT2_PKS4_PKT4_PKT5_llPT6_ll16rocsparse_order_21rocsparse_index_base_
    .private_segment_fixed_size: 0
    .sgpr_count:     48
    .sgpr_spill_count: 0
    .symbol:         _ZN9rocsparse31csrmmnn_row_split_shared_kernelILj256ELj8EfliDF16_DF16_fEEvNS_24const_host_device_scalarIT1_EES3_bbbT3_S4_llPKT2_PKS4_PKT4_PKT5_llPT6_ll16rocsparse_order_21rocsparse_index_base_.kd
    .uniform_work_group_size: 1
    .uses_dynamic_stack: false
    .vgpr_count:     43
    .vgpr_spill_count: 0
    .wavefront_size: 64
  - .agpr_count:     0
    .args:
      - .offset:         0
        .size:           8
        .value_kind:     by_value
      - .offset:         8
        .size:           8
        .value_kind:     by_value
      - .offset:         16
        .size:           1
        .value_kind:     by_value
      - .offset:         17
        .size:           1
        .value_kind:     by_value
      - .offset:         18
        .size:           1
        .value_kind:     by_value
      - .offset:         24
        .size:           8
        .value_kind:     by_value
      - .offset:         32
        .size:           8
        .value_kind:     by_value
      - .offset:         40
        .size:           8
        .value_kind:     by_value
      - .offset:         48
        .size:           8
        .value_kind:     by_value
      - .address_space:  global
        .offset:         56
        .size:           8
        .value_kind:     global_buffer
      - .address_space:  global
        .offset:         64
        .size:           8
        .value_kind:     global_buffer
      - .address_space:  global
        .offset:         72
        .size:           8
        .value_kind:     global_buffer
      - .address_space:  global
        .offset:         80
        .size:           8
        .value_kind:     global_buffer
      - .offset:         88
        .size:           8
        .value_kind:     by_value
      - .offset:         96
        .size:           8
        .value_kind:     by_value
      - .address_space:  global
        .offset:         104
        .size:           8
        .value_kind:     global_buffer
      - .offset:         112
        .size:           8
        .value_kind:     by_value
      - .offset:         120
        .size:           8
        .value_kind:     by_value
      - .offset:         128
        .size:           4
        .value_kind:     by_value
      - .offset:         132
        .size:           4
        .value_kind:     by_value
    .group_segment_fixed_size: 3072
    .kernarg_segment_align: 8
    .kernarg_segment_size: 136
    .language:       OpenCL C
    .language_version:
      - 2
      - 0
    .max_flat_workgroup_size: 256
    .name:           _ZN9rocsparse31csrmmnn_row_split_shared_kernelILj256ELj8EfllDF16_DF16_fEEvNS_24const_host_device_scalarIT1_EES3_bbbT3_S4_llPKT2_PKS4_PKT4_PKT5_llPT6_ll16rocsparse_order_21rocsparse_index_base_
    .private_segment_fixed_size: 0
    .sgpr_count:     52
    .sgpr_spill_count: 0
    .symbol:         _ZN9rocsparse31csrmmnn_row_split_shared_kernelILj256ELj8EfllDF16_DF16_fEEvNS_24const_host_device_scalarIT1_EES3_bbbT3_S4_llPKT2_PKS4_PKT4_PKT5_llPT6_ll16rocsparse_order_21rocsparse_index_base_.kd
    .uniform_work_group_size: 1
    .uses_dynamic_stack: false
    .vgpr_count:     43
    .vgpr_spill_count: 0
    .wavefront_size: 64
  - .agpr_count:     0
    .args:
      - .offset:         0
        .size:           8
        .value_kind:     by_value
      - .offset:         8
        .size:           8
        .value_kind:     by_value
      - .offset:         16
        .size:           1
        .value_kind:     by_value
      - .offset:         17
        .size:           1
        .value_kind:     by_value
      - .offset:         18
        .size:           1
        .value_kind:     by_value
      - .offset:         20
        .size:           4
        .value_kind:     by_value
      - .offset:         24
        .size:           4
        .value_kind:     by_value
      - .offset:         32
        .size:           8
        .value_kind:     by_value
      - .offset:         40
        .size:           8
        .value_kind:     by_value
      - .address_space:  global
        .offset:         48
        .size:           8
        .value_kind:     global_buffer
      - .address_space:  global
        .offset:         56
        .size:           8
        .value_kind:     global_buffer
      - .address_space:  global
        .offset:         64
        .size:           8
        .value_kind:     global_buffer
      - .address_space:  global
        .offset:         72
        .size:           8
        .value_kind:     global_buffer
      - .offset:         80
        .size:           8
        .value_kind:     by_value
      - .offset:         88
        .size:           8
        .value_kind:     by_value
      - .address_space:  global
        .offset:         96
        .size:           8
        .value_kind:     global_buffer
      - .offset:         104
        .size:           8
        .value_kind:     by_value
      - .offset:         112
        .size:           8
        .value_kind:     by_value
      - .offset:         120
        .size:           4
        .value_kind:     by_value
      - .offset:         124
        .size:           4
        .value_kind:     by_value
    .group_segment_fixed_size: 2048
    .kernarg_segment_align: 8
    .kernarg_segment_size: 128
    .language:       OpenCL C
    .language_version:
      - 2
      - 0
    .max_flat_workgroup_size: 256
    .name:           _ZN9rocsparse31csrmmnn_row_split_shared_kernelILj256ELj8EiiiaaiEEvNS_24const_host_device_scalarIT1_EES3_bbbT3_S4_llPKT2_PKS4_PKT4_PKT5_llPT6_ll16rocsparse_order_21rocsparse_index_base_
    .private_segment_fixed_size: 0
    .sgpr_count:     36
    .sgpr_spill_count: 0
    .symbol:         _ZN9rocsparse31csrmmnn_row_split_shared_kernelILj256ELj8EiiiaaiEEvNS_24const_host_device_scalarIT1_EES3_bbbT3_S4_llPKT2_PKS4_PKT4_PKT5_llPT6_ll16rocsparse_order_21rocsparse_index_base_.kd
    .uniform_work_group_size: 1
    .uses_dynamic_stack: false
    .vgpr_count:     37
    .vgpr_spill_count: 0
    .wavefront_size: 64
  - .agpr_count:     0
    .args:
      - .offset:         0
        .size:           8
        .value_kind:     by_value
      - .offset:         8
        .size:           8
        .value_kind:     by_value
      - .offset:         16
        .size:           1
        .value_kind:     by_value
      - .offset:         17
        .size:           1
        .value_kind:     by_value
      - .offset:         18
        .size:           1
        .value_kind:     by_value
      - .offset:         20
        .size:           4
        .value_kind:     by_value
      - .offset:         24
        .size:           4
        .value_kind:     by_value
      - .offset:         32
        .size:           8
        .value_kind:     by_value
      - .offset:         40
        .size:           8
        .value_kind:     by_value
      - .address_space:  global
        .offset:         48
        .size:           8
        .value_kind:     global_buffer
      - .address_space:  global
        .offset:         56
        .size:           8
        .value_kind:     global_buffer
      - .address_space:  global
        .offset:         64
        .size:           8
        .value_kind:     global_buffer
      - .address_space:  global
        .offset:         72
        .size:           8
        .value_kind:     global_buffer
      - .offset:         80
        .size:           8
        .value_kind:     by_value
      - .offset:         88
        .size:           8
        .value_kind:     by_value
      - .address_space:  global
        .offset:         96
        .size:           8
        .value_kind:     global_buffer
      - .offset:         104
        .size:           8
        .value_kind:     by_value
      - .offset:         112
        .size:           8
        .value_kind:     by_value
      - .offset:         120
        .size:           4
        .value_kind:     by_value
      - .offset:         124
        .size:           4
        .value_kind:     by_value
    .group_segment_fixed_size: 2048
    .kernarg_segment_align: 8
    .kernarg_segment_size: 128
    .language:       OpenCL C
    .language_version:
      - 2
      - 0
    .max_flat_workgroup_size: 256
    .name:           _ZN9rocsparse31csrmmnn_row_split_shared_kernelILj256ELj8EiliaaiEEvNS_24const_host_device_scalarIT1_EES3_bbbT3_S4_llPKT2_PKS4_PKT4_PKT5_llPT6_ll16rocsparse_order_21rocsparse_index_base_
    .private_segment_fixed_size: 0
    .sgpr_count:     36
    .sgpr_spill_count: 0
    .symbol:         _ZN9rocsparse31csrmmnn_row_split_shared_kernelILj256ELj8EiliaaiEEvNS_24const_host_device_scalarIT1_EES3_bbbT3_S4_llPKT2_PKS4_PKT4_PKT5_llPT6_ll16rocsparse_order_21rocsparse_index_base_.kd
    .uniform_work_group_size: 1
    .uses_dynamic_stack: false
    .vgpr_count:     42
    .vgpr_spill_count: 0
    .wavefront_size: 64
  - .agpr_count:     0
    .args:
      - .offset:         0
        .size:           8
        .value_kind:     by_value
      - .offset:         8
        .size:           8
        .value_kind:     by_value
      - .offset:         16
        .size:           1
        .value_kind:     by_value
      - .offset:         17
        .size:           1
        .value_kind:     by_value
      - .offset:         18
        .size:           1
        .value_kind:     by_value
      - .offset:         24
        .size:           8
        .value_kind:     by_value
      - .offset:         32
        .size:           8
        .value_kind:     by_value
      - .offset:         40
        .size:           8
        .value_kind:     by_value
      - .offset:         48
        .size:           8
        .value_kind:     by_value
      - .address_space:  global
        .offset:         56
        .size:           8
        .value_kind:     global_buffer
      - .address_space:  global
        .offset:         64
        .size:           8
        .value_kind:     global_buffer
      - .address_space:  global
        .offset:         72
        .size:           8
        .value_kind:     global_buffer
      - .address_space:  global
        .offset:         80
        .size:           8
        .value_kind:     global_buffer
      - .offset:         88
        .size:           8
        .value_kind:     by_value
      - .offset:         96
        .size:           8
        .value_kind:     by_value
      - .address_space:  global
        .offset:         104
        .size:           8
        .value_kind:     global_buffer
      - .offset:         112
        .size:           8
        .value_kind:     by_value
      - .offset:         120
        .size:           8
        .value_kind:     by_value
      - .offset:         128
        .size:           4
        .value_kind:     by_value
      - .offset:         132
        .size:           4
        .value_kind:     by_value
    .group_segment_fixed_size: 3072
    .kernarg_segment_align: 8
    .kernarg_segment_size: 136
    .language:       OpenCL C
    .language_version:
      - 2
      - 0
    .max_flat_workgroup_size: 256
    .name:           _ZN9rocsparse31csrmmnn_row_split_shared_kernelILj256ELj8EillaaiEEvNS_24const_host_device_scalarIT1_EES3_bbbT3_S4_llPKT2_PKS4_PKT4_PKT5_llPT6_ll16rocsparse_order_21rocsparse_index_base_
    .private_segment_fixed_size: 0
    .sgpr_count:     48
    .sgpr_spill_count: 0
    .symbol:         _ZN9rocsparse31csrmmnn_row_split_shared_kernelILj256ELj8EillaaiEEvNS_24const_host_device_scalarIT1_EES3_bbbT3_S4_llPKT2_PKS4_PKT4_PKT5_llPT6_ll16rocsparse_order_21rocsparse_index_base_.kd
    .uniform_work_group_size: 1
    .uses_dynamic_stack: false
    .vgpr_count:     42
    .vgpr_spill_count: 0
    .wavefront_size: 64
  - .agpr_count:     0
    .args:
      - .offset:         0
        .size:           8
        .value_kind:     by_value
      - .offset:         8
        .size:           8
        .value_kind:     by_value
      - .offset:         16
        .size:           1
        .value_kind:     by_value
      - .offset:         17
        .size:           1
        .value_kind:     by_value
      - .offset:         18
        .size:           1
        .value_kind:     by_value
      - .offset:         20
        .size:           4
        .value_kind:     by_value
      - .offset:         24
        .size:           4
        .value_kind:     by_value
      - .offset:         32
        .size:           8
        .value_kind:     by_value
      - .offset:         40
        .size:           8
        .value_kind:     by_value
      - .address_space:  global
        .offset:         48
        .size:           8
        .value_kind:     global_buffer
      - .address_space:  global
        .offset:         56
        .size:           8
        .value_kind:     global_buffer
      - .address_space:  global
        .offset:         64
        .size:           8
        .value_kind:     global_buffer
      - .address_space:  global
        .offset:         72
        .size:           8
        .value_kind:     global_buffer
      - .offset:         80
        .size:           8
        .value_kind:     by_value
      - .offset:         88
        .size:           8
        .value_kind:     by_value
      - .address_space:  global
        .offset:         96
        .size:           8
        .value_kind:     global_buffer
      - .offset:         104
        .size:           8
        .value_kind:     by_value
      - .offset:         112
        .size:           8
        .value_kind:     by_value
      - .offset:         120
        .size:           4
        .value_kind:     by_value
      - .offset:         124
        .size:           4
        .value_kind:     by_value
    .group_segment_fixed_size: 2048
    .kernarg_segment_align: 8
    .kernarg_segment_size: 128
    .language:       OpenCL C
    .language_version:
      - 2
      - 0
    .max_flat_workgroup_size: 256
    .name:           _ZN9rocsparse31csrmmnn_row_split_shared_kernelILj256ELj8EfiiaafEEvNS_24const_host_device_scalarIT1_EES3_bbbT3_S4_llPKT2_PKS4_PKT4_PKT5_llPT6_ll16rocsparse_order_21rocsparse_index_base_
    .private_segment_fixed_size: 0
    .sgpr_count:     48
    .sgpr_spill_count: 0
    .symbol:         _ZN9rocsparse31csrmmnn_row_split_shared_kernelILj256ELj8EfiiaafEEvNS_24const_host_device_scalarIT1_EES3_bbbT3_S4_llPKT2_PKS4_PKT4_PKT5_llPT6_ll16rocsparse_order_21rocsparse_index_base_.kd
    .uniform_work_group_size: 1
    .uses_dynamic_stack: false
    .vgpr_count:     37
    .vgpr_spill_count: 0
    .wavefront_size: 64
  - .agpr_count:     0
    .args:
      - .offset:         0
        .size:           8
        .value_kind:     by_value
      - .offset:         8
        .size:           8
        .value_kind:     by_value
      - .offset:         16
        .size:           1
        .value_kind:     by_value
      - .offset:         17
        .size:           1
        .value_kind:     by_value
      - .offset:         18
        .size:           1
        .value_kind:     by_value
      - .offset:         20
        .size:           4
        .value_kind:     by_value
      - .offset:         24
        .size:           4
        .value_kind:     by_value
      - .offset:         32
        .size:           8
        .value_kind:     by_value
      - .offset:         40
        .size:           8
        .value_kind:     by_value
      - .address_space:  global
        .offset:         48
        .size:           8
        .value_kind:     global_buffer
      - .address_space:  global
        .offset:         56
        .size:           8
        .value_kind:     global_buffer
      - .address_space:  global
        .offset:         64
        .size:           8
        .value_kind:     global_buffer
      - .address_space:  global
        .offset:         72
        .size:           8
        .value_kind:     global_buffer
      - .offset:         80
        .size:           8
        .value_kind:     by_value
      - .offset:         88
        .size:           8
        .value_kind:     by_value
      - .address_space:  global
        .offset:         96
        .size:           8
        .value_kind:     global_buffer
      - .offset:         104
        .size:           8
        .value_kind:     by_value
      - .offset:         112
        .size:           8
        .value_kind:     by_value
      - .offset:         120
        .size:           4
        .value_kind:     by_value
      - .offset:         124
        .size:           4
        .value_kind:     by_value
    .group_segment_fixed_size: 2048
    .kernarg_segment_align: 8
    .kernarg_segment_size: 128
    .language:       OpenCL C
    .language_version:
      - 2
      - 0
    .max_flat_workgroup_size: 256
    .name:           _ZN9rocsparse31csrmmnn_row_split_shared_kernelILj256ELj8EfliaafEEvNS_24const_host_device_scalarIT1_EES3_bbbT3_S4_llPKT2_PKS4_PKT4_PKT5_llPT6_ll16rocsparse_order_21rocsparse_index_base_
    .private_segment_fixed_size: 0
    .sgpr_count:     48
    .sgpr_spill_count: 0
    .symbol:         _ZN9rocsparse31csrmmnn_row_split_shared_kernelILj256ELj8EfliaafEEvNS_24const_host_device_scalarIT1_EES3_bbbT3_S4_llPKT2_PKS4_PKT4_PKT5_llPT6_ll16rocsparse_order_21rocsparse_index_base_.kd
    .uniform_work_group_size: 1
    .uses_dynamic_stack: false
    .vgpr_count:     42
    .vgpr_spill_count: 0
    .wavefront_size: 64
  - .agpr_count:     0
    .args:
      - .offset:         0
        .size:           8
        .value_kind:     by_value
      - .offset:         8
        .size:           8
        .value_kind:     by_value
      - .offset:         16
        .size:           1
        .value_kind:     by_value
      - .offset:         17
        .size:           1
        .value_kind:     by_value
      - .offset:         18
        .size:           1
        .value_kind:     by_value
      - .offset:         24
        .size:           8
        .value_kind:     by_value
      - .offset:         32
        .size:           8
        .value_kind:     by_value
      - .offset:         40
        .size:           8
        .value_kind:     by_value
      - .offset:         48
        .size:           8
        .value_kind:     by_value
      - .address_space:  global
        .offset:         56
        .size:           8
        .value_kind:     global_buffer
      - .address_space:  global
        .offset:         64
        .size:           8
        .value_kind:     global_buffer
      - .address_space:  global
        .offset:         72
        .size:           8
        .value_kind:     global_buffer
      - .address_space:  global
        .offset:         80
        .size:           8
        .value_kind:     global_buffer
      - .offset:         88
        .size:           8
        .value_kind:     by_value
      - .offset:         96
        .size:           8
        .value_kind:     by_value
      - .address_space:  global
        .offset:         104
        .size:           8
        .value_kind:     global_buffer
      - .offset:         112
        .size:           8
        .value_kind:     by_value
      - .offset:         120
        .size:           8
        .value_kind:     by_value
      - .offset:         128
        .size:           4
        .value_kind:     by_value
      - .offset:         132
        .size:           4
        .value_kind:     by_value
    .group_segment_fixed_size: 3072
    .kernarg_segment_align: 8
    .kernarg_segment_size: 136
    .language:       OpenCL C
    .language_version:
      - 2
      - 0
    .max_flat_workgroup_size: 256
    .name:           _ZN9rocsparse31csrmmnn_row_split_shared_kernelILj256ELj8EfllaafEEvNS_24const_host_device_scalarIT1_EES3_bbbT3_S4_llPKT2_PKS4_PKT4_PKT5_llPT6_ll16rocsparse_order_21rocsparse_index_base_
    .private_segment_fixed_size: 0
    .sgpr_count:     52
    .sgpr_spill_count: 0
    .symbol:         _ZN9rocsparse31csrmmnn_row_split_shared_kernelILj256ELj8EfllaafEEvNS_24const_host_device_scalarIT1_EES3_bbbT3_S4_llPKT2_PKS4_PKT4_PKT5_llPT6_ll16rocsparse_order_21rocsparse_index_base_.kd
    .uniform_work_group_size: 1
    .uses_dynamic_stack: false
    .vgpr_count:     42
    .vgpr_spill_count: 0
    .wavefront_size: 64
amdhsa.target:   amdgcn-amd-amdhsa--gfx90a
amdhsa.version:
  - 1
  - 2
...

	.end_amdgpu_metadata
